;; amdgpu-corpus repo=ROCm/composable_kernel kind=compiled arch=gfx950 opt=O3
	.amdgcn_target "amdgcn-amd-amdhsa--gfx950"
	.amdhsa_code_object_version 6
	.section	.text._ZN2ckL12flush_icacheEv,"axG",@progbits,_ZN2ckL12flush_icacheEv,comdat
	.globl	_ZN2ckL12flush_icacheEv         ; -- Begin function _ZN2ckL12flush_icacheEv
	.p2align	8
	.type	_ZN2ckL12flush_icacheEv,@function
_ZN2ckL12flush_icacheEv:                ; @_ZN2ckL12flush_icacheEv
; %bb.0:
	;;#ASMSTART
	s_icache_inv 
	s_nop 0 
	s_nop 0 
	;; [unrolled: 1-line block ×16, first 2 shown]
	
	;;#ASMEND
	s_endpgm
	.section	.rodata,"a",@progbits
	.p2align	6, 0x0
	.amdhsa_kernel _ZN2ckL12flush_icacheEv
		.amdhsa_group_segment_fixed_size 0
		.amdhsa_private_segment_fixed_size 0
		.amdhsa_kernarg_size 0
		.amdhsa_user_sgpr_count 0
		.amdhsa_user_sgpr_dispatch_ptr 0
		.amdhsa_user_sgpr_queue_ptr 0
		.amdhsa_user_sgpr_kernarg_segment_ptr 0
		.amdhsa_user_sgpr_dispatch_id 0
		.amdhsa_user_sgpr_kernarg_preload_length 0
		.amdhsa_user_sgpr_kernarg_preload_offset 0
		.amdhsa_user_sgpr_private_segment_size 0
		.amdhsa_uses_dynamic_stack 0
		.amdhsa_enable_private_segment 0
		.amdhsa_system_sgpr_workgroup_id_x 1
		.amdhsa_system_sgpr_workgroup_id_y 0
		.amdhsa_system_sgpr_workgroup_id_z 0
		.amdhsa_system_sgpr_workgroup_info 0
		.amdhsa_system_vgpr_workitem_id 0
		.amdhsa_next_free_vgpr 1
		.amdhsa_next_free_sgpr 0
		.amdhsa_accum_offset 4
		.amdhsa_reserve_vcc 0
		.amdhsa_float_round_mode_32 0
		.amdhsa_float_round_mode_16_64 0
		.amdhsa_float_denorm_mode_32 3
		.amdhsa_float_denorm_mode_16_64 3
		.amdhsa_dx10_clamp 1
		.amdhsa_ieee_mode 1
		.amdhsa_fp16_overflow 0
		.amdhsa_tg_split 0
		.amdhsa_exception_fp_ieee_invalid_op 0
		.amdhsa_exception_fp_denorm_src 0
		.amdhsa_exception_fp_ieee_div_zero 0
		.amdhsa_exception_fp_ieee_overflow 0
		.amdhsa_exception_fp_ieee_underflow 0
		.amdhsa_exception_fp_ieee_inexact 0
		.amdhsa_exception_int_div_zero 0
	.end_amdhsa_kernel
	.section	.text._ZN2ckL12flush_icacheEv,"axG",@progbits,_ZN2ckL12flush_icacheEv,comdat
.Lfunc_end0:
	.size	_ZN2ckL12flush_icacheEv, .Lfunc_end0-_ZN2ckL12flush_icacheEv
                                        ; -- End function
	.set _ZN2ckL12flush_icacheEv.num_vgpr, 0
	.set _ZN2ckL12flush_icacheEv.num_agpr, 0
	.set _ZN2ckL12flush_icacheEv.numbered_sgpr, 0
	.set _ZN2ckL12flush_icacheEv.num_named_barrier, 0
	.set _ZN2ckL12flush_icacheEv.private_seg_size, 0
	.set _ZN2ckL12flush_icacheEv.uses_vcc, 0
	.set _ZN2ckL12flush_icacheEv.uses_flat_scratch, 0
	.set _ZN2ckL12flush_icacheEv.has_dyn_sized_stack, 0
	.set _ZN2ckL12flush_icacheEv.has_recursion, 0
	.set _ZN2ckL12flush_icacheEv.has_indirect_call, 0
	.section	.AMDGPU.csdata,"",@progbits
; Kernel info:
; codeLenInByte = 276
; TotalNumSgprs: 6
; NumVgprs: 0
; NumAgprs: 0
; TotalNumVgprs: 0
; ScratchSize: 0
; MemoryBound: 0
; FloatMode: 240
; IeeeMode: 1
; LDSByteSize: 0 bytes/workgroup (compile time only)
; SGPRBlocks: 0
; VGPRBlocks: 0
; NumSGPRsForWavesPerEU: 6
; NumVGPRsForWavesPerEU: 1
; AccumOffset: 4
; Occupancy: 8
; WaveLimiterHint : 0
; COMPUTE_PGM_RSRC2:SCRATCH_EN: 0
; COMPUTE_PGM_RSRC2:USER_SGPR: 0
; COMPUTE_PGM_RSRC2:TRAP_HANDLER: 0
; COMPUTE_PGM_RSRC2:TGID_X_EN: 1
; COMPUTE_PGM_RSRC2:TGID_Y_EN: 0
; COMPUTE_PGM_RSRC2:TGID_Z_EN: 0
; COMPUTE_PGM_RSRC2:TIDIG_COMP_CNT: 0
; COMPUTE_PGM_RSRC3_GFX90A:ACCUM_OFFSET: 0
; COMPUTE_PGM_RSRC3_GFX90A:TG_SPLIT: 0
	.section	.text._ZN2ck51kernel_gemm_multiple_d_xdl_cshuffle_lds_direct_loadINS_48GridwiseGemmMultipleD_Xdl_CShuffle_LdsDirectLoadINS_13tensor_layout4gemm8RowMajorENS3_11ColumnMajorENS_5TupleIJEEES4_fffffS7_fNS_16tensor_operation12element_wise11PassThroughESA_SA_LNS_25InMemoryDataOperationEnumE0ELNS8_6device18GemmSpecializationE0ELi1ELi256ELi128ELi128ELi32ELi8ELi8ELi32ELi32ELi2ELi2ENS_8SequenceIJLi4ELi8ELi8EEEENSE_IJLi1ELi0ELi2EEEELi2ELi1ELi1ESF_SG_Li2ELi1ELi1ELi1ELi1ENSE_IJLi1ELi8ELi1ELi8EEEELi4ELNS_13LoopSchedulerE0ELNS_15PipelineVersionE2EfEEffS7_fSA_SA_SA_NS_16TensorDescriptorINS6_IJNS_5EmbedINS6_IJiiEEENS6_IJiNS_17integral_constantIiLi1EEEEEELb0EEENS_11PassThroughIiEEST_NS_7UnMergeINS6_IJiNSO_IiLi8EEEEEELb0EEEST_EEENS6_IJNSE_IJLi0EEEENSE_IJLi1EEEENSE_IJLi2EEEENSE_IJLi4EEEENSE_IJLi3EEEEEEENS6_IJNSE_IJLi1ELi2EEEES13_S12_NSE_IJLi5ELi6EEEENSE_IJLi7EEEEEEENSE_IJLi5ELi7ELi6EEEElEES1A_S7_NSL_INS6_IJSR_ST_ST_NSU_INS6_IJiNSO_IiLi128EEEEEELb0EEES1D_EEENS6_IJSZ_S10_S11_S13_S12_EEENS6_IJS15_S13_S12_S16_NSE_IJLi7ELi8EEEEEEENSE_IJLi5ELi6ELi7ELi8EEEElEENS_31BlockToCTileMap_M00_N0_M01AdaptILi128ELi128ENSL_INS6_IJSR_ST_ST_EEENS6_IJSZ_S10_S11_EEENS6_IJS15_S13_S12_EEENSE_IJLi3ELi4EEEElEEiEELb1ELi2EEEvPKT0_PKT1_T2_PT3_T4_T5_T6_T7_T8_T9_T10_T11_,"axG",@progbits,_ZN2ck51kernel_gemm_multiple_d_xdl_cshuffle_lds_direct_loadINS_48GridwiseGemmMultipleD_Xdl_CShuffle_LdsDirectLoadINS_13tensor_layout4gemm8RowMajorENS3_11ColumnMajorENS_5TupleIJEEES4_fffffS7_fNS_16tensor_operation12element_wise11PassThroughESA_SA_LNS_25InMemoryDataOperationEnumE0ELNS8_6device18GemmSpecializationE0ELi1ELi256ELi128ELi128ELi32ELi8ELi8ELi32ELi32ELi2ELi2ENS_8SequenceIJLi4ELi8ELi8EEEENSE_IJLi1ELi0ELi2EEEELi2ELi1ELi1ESF_SG_Li2ELi1ELi1ELi1ELi1ENSE_IJLi1ELi8ELi1ELi8EEEELi4ELNS_13LoopSchedulerE0ELNS_15PipelineVersionE2EfEEffS7_fSA_SA_SA_NS_16TensorDescriptorINS6_IJNS_5EmbedINS6_IJiiEEENS6_IJiNS_17integral_constantIiLi1EEEEEELb0EEENS_11PassThroughIiEEST_NS_7UnMergeINS6_IJiNSO_IiLi8EEEEEELb0EEEST_EEENS6_IJNSE_IJLi0EEEENSE_IJLi1EEEENSE_IJLi2EEEENSE_IJLi4EEEENSE_IJLi3EEEEEEENS6_IJNSE_IJLi1ELi2EEEES13_S12_NSE_IJLi5ELi6EEEENSE_IJLi7EEEEEEENSE_IJLi5ELi7ELi6EEEElEES1A_S7_NSL_INS6_IJSR_ST_ST_NSU_INS6_IJiNSO_IiLi128EEEEEELb0EEES1D_EEENS6_IJSZ_S10_S11_S13_S12_EEENS6_IJS15_S13_S12_S16_NSE_IJLi7ELi8EEEEEEENSE_IJLi5ELi6ELi7ELi8EEEElEENS_31BlockToCTileMap_M00_N0_M01AdaptILi128ELi128ENSL_INS6_IJSR_ST_ST_EEENS6_IJSZ_S10_S11_EEENS6_IJS15_S13_S12_EEENSE_IJLi3ELi4EEEElEEiEELb1ELi2EEEvPKT0_PKT1_T2_PT3_T4_T5_T6_T7_T8_T9_T10_T11_,comdat
	.protected	_ZN2ck51kernel_gemm_multiple_d_xdl_cshuffle_lds_direct_loadINS_48GridwiseGemmMultipleD_Xdl_CShuffle_LdsDirectLoadINS_13tensor_layout4gemm8RowMajorENS3_11ColumnMajorENS_5TupleIJEEES4_fffffS7_fNS_16tensor_operation12element_wise11PassThroughESA_SA_LNS_25InMemoryDataOperationEnumE0ELNS8_6device18GemmSpecializationE0ELi1ELi256ELi128ELi128ELi32ELi8ELi8ELi32ELi32ELi2ELi2ENS_8SequenceIJLi4ELi8ELi8EEEENSE_IJLi1ELi0ELi2EEEELi2ELi1ELi1ESF_SG_Li2ELi1ELi1ELi1ELi1ENSE_IJLi1ELi8ELi1ELi8EEEELi4ELNS_13LoopSchedulerE0ELNS_15PipelineVersionE2EfEEffS7_fSA_SA_SA_NS_16TensorDescriptorINS6_IJNS_5EmbedINS6_IJiiEEENS6_IJiNS_17integral_constantIiLi1EEEEEELb0EEENS_11PassThroughIiEEST_NS_7UnMergeINS6_IJiNSO_IiLi8EEEEEELb0EEEST_EEENS6_IJNSE_IJLi0EEEENSE_IJLi1EEEENSE_IJLi2EEEENSE_IJLi4EEEENSE_IJLi3EEEEEEENS6_IJNSE_IJLi1ELi2EEEES13_S12_NSE_IJLi5ELi6EEEENSE_IJLi7EEEEEEENSE_IJLi5ELi7ELi6EEEElEES1A_S7_NSL_INS6_IJSR_ST_ST_NSU_INS6_IJiNSO_IiLi128EEEEEELb0EEES1D_EEENS6_IJSZ_S10_S11_S13_S12_EEENS6_IJS15_S13_S12_S16_NSE_IJLi7ELi8EEEEEEENSE_IJLi5ELi6ELi7ELi8EEEElEENS_31BlockToCTileMap_M00_N0_M01AdaptILi128ELi128ENSL_INS6_IJSR_ST_ST_EEENS6_IJSZ_S10_S11_EEENS6_IJS15_S13_S12_EEENSE_IJLi3ELi4EEEElEEiEELb1ELi2EEEvPKT0_PKT1_T2_PT3_T4_T5_T6_T7_T8_T9_T10_T11_ ; -- Begin function _ZN2ck51kernel_gemm_multiple_d_xdl_cshuffle_lds_direct_loadINS_48GridwiseGemmMultipleD_Xdl_CShuffle_LdsDirectLoadINS_13tensor_layout4gemm8RowMajorENS3_11ColumnMajorENS_5TupleIJEEES4_fffffS7_fNS_16tensor_operation12element_wise11PassThroughESA_SA_LNS_25InMemoryDataOperationEnumE0ELNS8_6device18GemmSpecializationE0ELi1ELi256ELi128ELi128ELi32ELi8ELi8ELi32ELi32ELi2ELi2ENS_8SequenceIJLi4ELi8ELi8EEEENSE_IJLi1ELi0ELi2EEEELi2ELi1ELi1ESF_SG_Li2ELi1ELi1ELi1ELi1ENSE_IJLi1ELi8ELi1ELi8EEEELi4ELNS_13LoopSchedulerE0ELNS_15PipelineVersionE2EfEEffS7_fSA_SA_SA_NS_16TensorDescriptorINS6_IJNS_5EmbedINS6_IJiiEEENS6_IJiNS_17integral_constantIiLi1EEEEEELb0EEENS_11PassThroughIiEEST_NS_7UnMergeINS6_IJiNSO_IiLi8EEEEEELb0EEEST_EEENS6_IJNSE_IJLi0EEEENSE_IJLi1EEEENSE_IJLi2EEEENSE_IJLi4EEEENSE_IJLi3EEEEEEENS6_IJNSE_IJLi1ELi2EEEES13_S12_NSE_IJLi5ELi6EEEENSE_IJLi7EEEEEEENSE_IJLi5ELi7ELi6EEEElEES1A_S7_NSL_INS6_IJSR_ST_ST_NSU_INS6_IJiNSO_IiLi128EEEEEELb0EEES1D_EEENS6_IJSZ_S10_S11_S13_S12_EEENS6_IJS15_S13_S12_S16_NSE_IJLi7ELi8EEEEEEENSE_IJLi5ELi6ELi7ELi8EEEElEENS_31BlockToCTileMap_M00_N0_M01AdaptILi128ELi128ENSL_INS6_IJSR_ST_ST_EEENS6_IJSZ_S10_S11_EEENS6_IJS15_S13_S12_EEENSE_IJLi3ELi4EEEElEEiEELb1ELi2EEEvPKT0_PKT1_T2_PT3_T4_T5_T6_T7_T8_T9_T10_T11_
	.globl	_ZN2ck51kernel_gemm_multiple_d_xdl_cshuffle_lds_direct_loadINS_48GridwiseGemmMultipleD_Xdl_CShuffle_LdsDirectLoadINS_13tensor_layout4gemm8RowMajorENS3_11ColumnMajorENS_5TupleIJEEES4_fffffS7_fNS_16tensor_operation12element_wise11PassThroughESA_SA_LNS_25InMemoryDataOperationEnumE0ELNS8_6device18GemmSpecializationE0ELi1ELi256ELi128ELi128ELi32ELi8ELi8ELi32ELi32ELi2ELi2ENS_8SequenceIJLi4ELi8ELi8EEEENSE_IJLi1ELi0ELi2EEEELi2ELi1ELi1ESF_SG_Li2ELi1ELi1ELi1ELi1ENSE_IJLi1ELi8ELi1ELi8EEEELi4ELNS_13LoopSchedulerE0ELNS_15PipelineVersionE2EfEEffS7_fSA_SA_SA_NS_16TensorDescriptorINS6_IJNS_5EmbedINS6_IJiiEEENS6_IJiNS_17integral_constantIiLi1EEEEEELb0EEENS_11PassThroughIiEEST_NS_7UnMergeINS6_IJiNSO_IiLi8EEEEEELb0EEEST_EEENS6_IJNSE_IJLi0EEEENSE_IJLi1EEEENSE_IJLi2EEEENSE_IJLi4EEEENSE_IJLi3EEEEEEENS6_IJNSE_IJLi1ELi2EEEES13_S12_NSE_IJLi5ELi6EEEENSE_IJLi7EEEEEEENSE_IJLi5ELi7ELi6EEEElEES1A_S7_NSL_INS6_IJSR_ST_ST_NSU_INS6_IJiNSO_IiLi128EEEEEELb0EEES1D_EEENS6_IJSZ_S10_S11_S13_S12_EEENS6_IJS15_S13_S12_S16_NSE_IJLi7ELi8EEEEEEENSE_IJLi5ELi6ELi7ELi8EEEElEENS_31BlockToCTileMap_M00_N0_M01AdaptILi128ELi128ENSL_INS6_IJSR_ST_ST_EEENS6_IJSZ_S10_S11_EEENS6_IJS15_S13_S12_EEENSE_IJLi3ELi4EEEElEEiEELb1ELi2EEEvPKT0_PKT1_T2_PT3_T4_T5_T6_T7_T8_T9_T10_T11_
	.p2align	8
	.type	_ZN2ck51kernel_gemm_multiple_d_xdl_cshuffle_lds_direct_loadINS_48GridwiseGemmMultipleD_Xdl_CShuffle_LdsDirectLoadINS_13tensor_layout4gemm8RowMajorENS3_11ColumnMajorENS_5TupleIJEEES4_fffffS7_fNS_16tensor_operation12element_wise11PassThroughESA_SA_LNS_25InMemoryDataOperationEnumE0ELNS8_6device18GemmSpecializationE0ELi1ELi256ELi128ELi128ELi32ELi8ELi8ELi32ELi32ELi2ELi2ENS_8SequenceIJLi4ELi8ELi8EEEENSE_IJLi1ELi0ELi2EEEELi2ELi1ELi1ESF_SG_Li2ELi1ELi1ELi1ELi1ENSE_IJLi1ELi8ELi1ELi8EEEELi4ELNS_13LoopSchedulerE0ELNS_15PipelineVersionE2EfEEffS7_fSA_SA_SA_NS_16TensorDescriptorINS6_IJNS_5EmbedINS6_IJiiEEENS6_IJiNS_17integral_constantIiLi1EEEEEELb0EEENS_11PassThroughIiEEST_NS_7UnMergeINS6_IJiNSO_IiLi8EEEEEELb0EEEST_EEENS6_IJNSE_IJLi0EEEENSE_IJLi1EEEENSE_IJLi2EEEENSE_IJLi4EEEENSE_IJLi3EEEEEEENS6_IJNSE_IJLi1ELi2EEEES13_S12_NSE_IJLi5ELi6EEEENSE_IJLi7EEEEEEENSE_IJLi5ELi7ELi6EEEElEES1A_S7_NSL_INS6_IJSR_ST_ST_NSU_INS6_IJiNSO_IiLi128EEEEEELb0EEES1D_EEENS6_IJSZ_S10_S11_S13_S12_EEENS6_IJS15_S13_S12_S16_NSE_IJLi7ELi8EEEEEEENSE_IJLi5ELi6ELi7ELi8EEEElEENS_31BlockToCTileMap_M00_N0_M01AdaptILi128ELi128ENSL_INS6_IJSR_ST_ST_EEENS6_IJSZ_S10_S11_EEENS6_IJS15_S13_S12_EEENSE_IJLi3ELi4EEEElEEiEELb1ELi2EEEvPKT0_PKT1_T2_PT3_T4_T5_T6_T7_T8_T9_T10_T11_,@function
_ZN2ck51kernel_gemm_multiple_d_xdl_cshuffle_lds_direct_loadINS_48GridwiseGemmMultipleD_Xdl_CShuffle_LdsDirectLoadINS_13tensor_layout4gemm8RowMajorENS3_11ColumnMajorENS_5TupleIJEEES4_fffffS7_fNS_16tensor_operation12element_wise11PassThroughESA_SA_LNS_25InMemoryDataOperationEnumE0ELNS8_6device18GemmSpecializationE0ELi1ELi256ELi128ELi128ELi32ELi8ELi8ELi32ELi32ELi2ELi2ENS_8SequenceIJLi4ELi8ELi8EEEENSE_IJLi1ELi0ELi2EEEELi2ELi1ELi1ESF_SG_Li2ELi1ELi1ELi1ELi1ENSE_IJLi1ELi8ELi1ELi8EEEELi4ELNS_13LoopSchedulerE0ELNS_15PipelineVersionE2EfEEffS7_fSA_SA_SA_NS_16TensorDescriptorINS6_IJNS_5EmbedINS6_IJiiEEENS6_IJiNS_17integral_constantIiLi1EEEEEELb0EEENS_11PassThroughIiEEST_NS_7UnMergeINS6_IJiNSO_IiLi8EEEEEELb0EEEST_EEENS6_IJNSE_IJLi0EEEENSE_IJLi1EEEENSE_IJLi2EEEENSE_IJLi4EEEENSE_IJLi3EEEEEEENS6_IJNSE_IJLi1ELi2EEEES13_S12_NSE_IJLi5ELi6EEEENSE_IJLi7EEEEEEENSE_IJLi5ELi7ELi6EEEElEES1A_S7_NSL_INS6_IJSR_ST_ST_NSU_INS6_IJiNSO_IiLi128EEEEEELb0EEES1D_EEENS6_IJSZ_S10_S11_S13_S12_EEENS6_IJS15_S13_S12_S16_NSE_IJLi7ELi8EEEEEEENSE_IJLi5ELi6ELi7ELi8EEEElEENS_31BlockToCTileMap_M00_N0_M01AdaptILi128ELi128ENSL_INS6_IJSR_ST_ST_EEENS6_IJSZ_S10_S11_EEENS6_IJS15_S13_S12_EEENSE_IJLi3ELi4EEEElEEiEELb1ELi2EEEvPKT0_PKT1_T2_PT3_T4_T5_T6_T7_T8_T9_T10_T11_: ; @_ZN2ck51kernel_gemm_multiple_d_xdl_cshuffle_lds_direct_loadINS_48GridwiseGemmMultipleD_Xdl_CShuffle_LdsDirectLoadINS_13tensor_layout4gemm8RowMajorENS3_11ColumnMajorENS_5TupleIJEEES4_fffffS7_fNS_16tensor_operation12element_wise11PassThroughESA_SA_LNS_25InMemoryDataOperationEnumE0ELNS8_6device18GemmSpecializationE0ELi1ELi256ELi128ELi128ELi32ELi8ELi8ELi32ELi32ELi2ELi2ENS_8SequenceIJLi4ELi8ELi8EEEENSE_IJLi1ELi0ELi2EEEELi2ELi1ELi1ESF_SG_Li2ELi1ELi1ELi1ELi1ENSE_IJLi1ELi8ELi1ELi8EEEELi4ELNS_13LoopSchedulerE0ELNS_15PipelineVersionE2EfEEffS7_fSA_SA_SA_NS_16TensorDescriptorINS6_IJNS_5EmbedINS6_IJiiEEENS6_IJiNS_17integral_constantIiLi1EEEEEELb0EEENS_11PassThroughIiEEST_NS_7UnMergeINS6_IJiNSO_IiLi8EEEEEELb0EEEST_EEENS6_IJNSE_IJLi0EEEENSE_IJLi1EEEENSE_IJLi2EEEENSE_IJLi4EEEENSE_IJLi3EEEEEEENS6_IJNSE_IJLi1ELi2EEEES13_S12_NSE_IJLi5ELi6EEEENSE_IJLi7EEEEEEENSE_IJLi5ELi7ELi6EEEElEES1A_S7_NSL_INS6_IJSR_ST_ST_NSU_INS6_IJiNSO_IiLi128EEEEEELb0EEES1D_EEENS6_IJSZ_S10_S11_S13_S12_EEENS6_IJS15_S13_S12_S16_NSE_IJLi7ELi8EEEEEEENSE_IJLi5ELi6ELi7ELi8EEEElEENS_31BlockToCTileMap_M00_N0_M01AdaptILi128ELi128ENSL_INS6_IJSR_ST_ST_EEENS6_IJSZ_S10_S11_EEENS6_IJS15_S13_S12_EEENSE_IJLi3ELi4EEEElEEiEELb1ELi2EEEvPKT0_PKT1_T2_PT3_T4_T5_T6_T7_T8_T9_T10_T11_
; %bb.0:
	s_load_dwordx4 s[8:11], s[0:1], 0xd8
	s_load_dword s3, s[0:1], 0xe8
	v_lshrrev_b32_e32 v3, 5, v0
	v_and_b32_e32 v85, 0xc0, v0
	v_lshrrev_b32_e32 v83, 2, v0
	s_waitcnt lgkmcnt(0)
	s_add_i32 s5, s10, 0x7f
	s_ashr_i32 s6, s5, 31
	s_add_i32 s4, s11, 0x7f
	s_lshr_b32 s6, s6, 25
	s_add_i32 s6, s5, s6
	s_ashr_i32 s5, s4, 31
	s_lshr_b32 s5, s5, 25
	s_add_i32 s4, s4, s5
	s_ashr_i32 s7, s6, 7
	s_ashr_i32 s10, s4, 7
	s_mul_i32 s4, s10, s7
	s_abs_i32 s4, s4
	v_cvt_f32_u32_e32 v1, s4
	s_sub_i32 s9, 0, s4
	s_ashr_i32 s5, s2, 31
	s_abs_i32 s2, s2
	v_rcp_iflag_f32_e32 v1, v1
	v_and_b32_e32 v2, 7, v0
	v_lshlrev_b32_e32 v88, 2, v2
	v_bfe_u32 v4, v0, 3, 2
	v_mul_f32_e32 v1, 0x4f7ffffe, v1
	v_cvt_u32_f32_e32 v1, v1
	v_mov_b32_e32 v18, 0
	v_lshrrev_b32_e32 v82, 3, v0
	v_lshrrev_b32_e32 v84, 1, v0
	v_readfirstlane_b32 s11, v1
	s_mul_i32 s9, s9, s11
	s_mul_hi_u32 s9, s11, s9
	s_add_i32 s11, s11, s9
	s_mul_hi_u32 s9, s2, s11
	s_mul_i32 s9, s9, s4
	s_sub_i32 s2, s2, s9
	s_sub_i32 s9, s2, s4
	s_cmp_ge_u32 s2, s4
	s_cselect_b32 s2, s9, s2
	s_sub_i32 s9, s2, s4
	s_cmp_ge_u32 s2, s4
	s_cselect_b32 s2, s9, s2
	s_abs_i32 s4, s10
	v_cvt_f32_u32_e32 v1, s4
	s_xor_b32 s2, s2, s5
	s_sub_i32 s2, s2, s5
	s_xor_b32 s5, s2, s10
	v_rcp_iflag_f32_e32 v1, v1
	s_sub_i32 s9, 0, s4
	s_ashr_i32 s12, s5, 31
	s_abs_i32 s11, s2
	v_mul_f32_e32 v1, 0x4f7ffffe, v1
	v_cvt_u32_f32_e32 v1, v1
	v_mov_b32_e32 v19, v18
	v_mov_b32_e32 v20, v18
	;; [unrolled: 1-line block ×3, first 2 shown]
	v_readfirstlane_b32 s5, v1
	s_mul_i32 s9, s9, s5
	s_mul_hi_u32 s9, s5, s9
	s_add_i32 s5, s5, s9
	s_mul_hi_u32 s5, s11, s5
	s_mul_i32 s9, s5, s4
	s_sub_i32 s9, s11, s9
	s_add_i32 s13, s5, 1
	s_sub_i32 s11, s9, s4
	s_cmp_ge_u32 s9, s4
	s_cselect_b32 s5, s13, s5
	s_cselect_b32 s9, s11, s9
	s_add_i32 s11, s5, 1
	s_cmp_ge_u32 s9, s4
	s_cselect_b32 s9, s11, s5
	s_abs_i32 s11, s3
	v_cvt_f32_u32_e32 v1, s11
	s_sub_i32 s14, 0, s11
	s_abs_i32 s13, s7
	s_xor_b32 s9, s9, s12
	v_rcp_iflag_f32_e32 v1, v1
	s_ashr_i32 s6, s6, 31
	s_sub_i32 s12, s9, s12
	s_mul_i32 s9, s12, s10
	v_mul_f32_e32 v1, 0x4f7ffffe, v1
	v_cvt_u32_f32_e32 v1, v1
	s_load_dwordx4 s[16:19], s[0:1], 0x0
	s_load_dwordx2 s[4:5], s[0:1], 0x18
	v_mov_b32_e32 v22, v18
	v_mov_b32_e32 v23, v18
	v_readfirstlane_b32 s15, v1
	s_mul_i32 s14, s14, s15
	s_mul_hi_u32 s14, s15, s14
	s_add_i32 s15, s15, s14
	s_mul_hi_u32 s14, s13, s15
	s_mul_i32 s14, s14, s11
	s_sub_i32 s13, s13, s14
	s_sub_i32 s14, s13, s11
	s_cmp_ge_u32 s13, s11
	s_cselect_b32 s13, s14, s13
	s_sub_i32 s14, s13, s11
	s_cmp_ge_u32 s13, s11
	s_cselect_b32 s13, s14, s13
	s_xor_b32 s13, s13, s6
	s_sub_i32 s6, s13, s6
	s_sub_i32 s7, s7, s6
	s_cmp_lt_i32 s12, s7
	s_cselect_b32 s3, s3, s6
	s_abs_i32 s7, s12
	s_sub_i32 s2, s2, s9
	s_mul_hi_u32 s9, s7, s15
	s_mul_i32 s9, s9, s11
	s_sub_i32 s7, s7, s9
	s_ashr_i32 s6, s12, 31
	s_sub_i32 s9, s7, s11
	s_cmp_ge_u32 s7, s11
	s_cselect_b32 s7, s9, s7
	s_sub_i32 s9, s7, s11
	s_cmp_ge_u32 s7, s11
	s_cselect_b32 s7, s9, s7
	s_abs_i32 s13, s3
	v_cvt_f32_u32_e32 v1, s13
	s_load_dword s11, s[0:1], 0x30
	s_load_dword s14, s[0:1], 0x40
	;; [unrolled: 1-line block ×6, first 2 shown]
	s_xor_b32 s0, s7, s6
	s_sub_i32 s0, s0, s6
	v_rcp_iflag_f32_e32 v1, v1
	s_mul_i32 s1, s0, s10
	s_sub_i32 s7, 0, s13
	s_add_i32 s1, s1, s2
	v_mul_f32_e32 v1, 0x4f7ffffe, v1
	v_cvt_u32_f32_e32 v1, v1
	s_abs_i32 s6, s1
	s_xor_b32 s2, s1, s3
	s_ashr_i32 s2, s2, 31
	v_readfirstlane_b32 s10, v1
	s_mul_i32 s7, s7, s10
	s_mul_hi_u32 s7, s10, s7
	s_add_i32 s10, s10, s7
	s_mul_hi_u32 s7, s6, s10
	s_mul_i32 s10, s7, s13
	s_sub_i32 s6, s6, s10
	s_add_i32 s10, s7, 1
	s_sub_i32 s22, s6, s13
	s_cmp_ge_u32 s6, s13
	s_cselect_b32 s7, s10, s7
	s_cselect_b32 s6, s22, s6
	s_add_i32 s10, s7, 1
	s_cmp_ge_u32 s6, s13
	s_cselect_b32 s6, s10, s7
	s_xor_b32 s6, s6, s2
	s_sub_i32 s6, s6, s2
	s_mul_i32 s2, s6, s3
	s_sub_i32 s1, s1, s2
	s_sub_i32 s7, s12, s0
	s_add_i32 s7, s7, s1
	s_waitcnt lgkmcnt(0)
	s_ashr_i32 s0, s14, 31
	v_lshl_or_b32 v5, s7, 7, v3
	s_lshr_b32 s0, s0, 30
	v_readfirstlane_b32 s10, v85
	v_and_b32_e32 v1, 31, v0
	v_mul_lo_u32 v5, v5, s11
	s_add_i32 s14, s14, s0
	s_mov_b32 s0, s16
	s_lshl_b32 s16, s10, 2
	s_lshl_b32 s2, s15, 2
	s_mov_b32 s3, 0x20000
	s_mov_b32 s1, s17
	v_add_lshl_u32 v9, v5, v1, 2
	s_mov_b32 m0, s16
	s_lshl_b32 s10, s11, 5
	buffer_load_dword v9, s[0:3], 0 offen lds
	v_add_u32_e32 v9, s10, v9
	s_add_i32 m0, s16, 0x400
	v_lshl_or_b32 v3, s6, 7, v3
	buffer_load_dword v9, s[0:3], 0 offen lds
	v_add_u32_e32 v9, s10, v9
	s_add_i32 m0, s16, 0x800
	v_mul_lo_u32 v6, v3, s20
	buffer_load_dword v9, s[0:3], 0 offen lds
	v_add_u32_e32 v9, s10, v9
	s_add_i32 m0, s16, 0xc00
	v_add_u32_e32 v7, v6, v1
	buffer_load_dword v9, s[0:3], 0 offen lds
	v_add_u32_e32 v9, s10, v9
	s_or_b32 m0, s16, 0x1000
	s_lshl_b32 s17, s20, 3
	buffer_load_dword v9, s[0:3], 0 offen lds
	v_add_u32_e32 v9, s10, v9
	s_add_i32 m0, s16, 0x1400
	s_ashr_i32 s22, s14, 2
	buffer_load_dword v9, s[0:3], 0 offen lds
	v_add_u32_e32 v9, s10, v9
	s_add_i32 m0, s16, 0x1800
	s_lshl_b32 s14, s21, 2
	buffer_load_dword v9, s[0:3], 0 offen lds
	v_add_u32_e32 v9, s10, v9
	s_add_i32 m0, s16, 0x1c00
	s_mov_b32 s12, s18
	buffer_load_dword v9, s[0:3], 0 offen lds
	v_add_u32_e32 v9, s10, v9
	s_or_b32 m0, s16, 0x2000
	s_mov_b32 s13, s19
	buffer_load_dword v9, s[0:3], 0 offen lds
	v_add_u32_e32 v9, s10, v9
	s_add_i32 m0, s16, 0x2400
	s_mov_b32 s15, s3
	buffer_load_dword v9, s[0:3], 0 offen lds
	v_add_u32_e32 v9, s10, v9
	s_add_i32 m0, s16, 0x2800
	v_and_or_b32 v8, v83, 32, v1
	buffer_load_dword v9, s[0:3], 0 offen lds
	v_add_u32_e32 v9, s10, v9
	s_add_i32 m0, s16, 0x2c00
	v_or_b32_e32 v2, 0x78, v3
	buffer_load_dword v9, s[0:3], 0 offen lds
	v_add_u32_e32 v9, s10, v9
	s_or_b32 m0, s16, 0x3000
	v_mul_lo_u32 v2, s20, v2
	buffer_load_dword v9, s[0:3], 0 offen lds
	v_add_u32_e32 v9, s10, v9
	s_add_i32 m0, s16, 0x3400
	v_lshlrev_b32_e32 v2, 2, v2
	buffer_load_dword v9, s[0:3], 0 offen lds
	v_add_u32_e32 v9, s10, v9
	s_add_i32 m0, s16, 0x3800
	v_mov_b32_e32 v24, v18
	buffer_load_dword v9, s[0:3], 0 offen lds
	v_add_u32_e32 v9, s10, v9
	s_add_i32 m0, s16, 0x3c00
	v_mov_b32_e32 v25, v18
	buffer_load_dword v9, s[0:3], 0 offen lds
	v_lshlrev_b32_e32 v9, 2, v7
	s_add_i32 m0, s16, 0x4000
	v_add_u32_e32 v7, s17, v7
	buffer_load_dword v9, s[12:15], 0 offen lds
	v_lshlrev_b32_e32 v9, 2, v7
	s_add_i32 m0, s16, 0x4400
	v_add_u32_e32 v7, s17, v7
	;; [unrolled: 4-line block ×14, first 2 shown]
	buffer_load_dword v9, s[12:15], 0 offen lds
	v_lshlrev_b32_e32 v9, 2, v7
	s_add_i32 m0, s16, 0x7800
	v_add_lshl_u32 v7, v7, s17, 2
	buffer_load_dword v9, s[12:15], 0 offen lds
	s_add_i32 m0, s16, 0x7c00
	v_lshlrev_b32_e32 v9, 7, v1
	buffer_load_dword v7, s[12:15], 0 offen lds
	v_lshlrev_b32_e32 v7, 1, v0
	v_and_b32_e32 v7, 64, v7
	v_lshl_or_b32 v86, v8, 7, v7
	v_lshlrev_b32_e32 v8, 6, v0
	v_and_b32_e32 v8, 0x1000, v8
	v_or3_b32 v87, v8, v9, v7
	v_lshlrev_b32_e32 v7, 5, v4
	s_movk_i32 s17, 0x80
	v_add3_u32 v89, v2, v7, s17
	v_or_b32_e32 v2, 0x70, v3
	v_mul_lo_u32 v2, s20, v2
	v_lshlrev_b32_e32 v2, 2, v2
	v_add3_u32 v90, v2, v7, s17
	v_or_b32_e32 v2, 0x68, v3
	v_mul_lo_u32 v2, s20, v2
	v_lshlrev_b32_e32 v2, 2, v2
	;; [unrolled: 4-line block ×14, first 2 shown]
	v_add3_u32 v103, v2, v7, s17
	v_lshlrev_b32_e32 v2, 2, v6
	s_max_i32 s16, s22, 2
	v_add3_u32 v104, v2, v7, s17
	v_lshlrev_b32_e32 v2, 2, v5
	v_add_lshl_u32 v3, s11, v4, 5
	v_add3_u32 v105, v2, v3, s17
	v_add3_u32 v106, v2, v7, s17
	s_add_i32 s11, s16, -1
	v_mov_b32_e32 v26, v18
	v_mov_b32_e32 v27, v18
	;; [unrolled: 1-line block ×56, first 2 shown]
.LBB1_1:                                ; =>This Inner Loop Header: Depth=1
	;;#ASMSTART
	    s_waitcnt vmcnt(0) 
     s_waitcnt lgkmcnt(0) 
     s_barrier     
	;;#ASMEND
	s_waitcnt vmcnt(0)
	ds_read_b128 v[66:69], v86
	ds_read_b128 v[70:73], v87 offset:16384
	ds_read_b128 v[74:77], v86 offset:16
	;; [unrolled: 1-line block ×5, first 2 shown]
	s_waitcnt lgkmcnt(4)
	v_mfma_f32_32x32x2_f32 v[50:65], v66, v70, v[50:65]
	ds_read_b128 v[116:119], v86 offset:8192
	ds_read_b128 v[120:123], v86 offset:8208
	v_readfirstlane_b32 s16, v85
	s_lshl_b32 s16, s16, 2
	s_mov_b32 m0, s16
	v_add_u32_e32 v107, v88, v98
	s_add_i32 s11, s11, -1
	v_add_u32_e32 v98, 0x80, v98
	s_waitcnt lgkmcnt(3)
	v_mfma_f32_32x32x2_f32 v[34:49], v66, v108, v[34:49]
	s_waitcnt lgkmcnt(1)
	v_mfma_f32_32x32x2_f32 v[2:17], v116, v70, v[2:17]
	v_mfma_f32_32x32x2_f32 v[18:33], v116, v108, v[18:33]
	;; [unrolled: 1-line block ×16, first 2 shown]
	s_waitcnt lgkmcnt(0)
	v_mfma_f32_32x32x2_f32 v[2:17], v120, v78, v[2:17]
	v_mfma_f32_32x32x2_f32 v[18:33], v120, v112, v[18:33]
	;; [unrolled: 1-line block ×14, first 2 shown]
	ds_read_b128 v[108:111], v86 offset:32
	ds_read_b128 v[112:115], v87 offset:16416
	;; [unrolled: 1-line block ×8, first 2 shown]
	;;#ASMSTART
	    s_waitcnt vmcnt(0) 
     s_waitcnt lgkmcnt(0) 
     s_barrier     
	;;#ASMEND
	s_waitcnt lgkmcnt(6)
	v_mfma_f32_32x32x2_f32 v[50:65], v108, v112, v[50:65]
	s_waitcnt lgkmcnt(3)
	v_mfma_f32_32x32x2_f32 v[34:49], v108, v116, v[34:49]
	v_add_u32_e32 v108, v88, v97
	v_add_u32_e32 v97, 0x80, v97
	s_waitcnt lgkmcnt(1)
	v_mfma_f32_32x32x2_f32 v[2:17], v120, v112, v[2:17]
	v_add_u32_e32 v112, v88, v93
	v_add_u32_e32 v93, 0x80, v93
	v_mfma_f32_32x32x2_f32 v[18:33], v120, v116, v[18:33]
	v_add_u32_e32 v116, v88, v89
	v_add_u32_e32 v89, 0x80, v89
	v_mfma_f32_32x32x2_f32 v[50:65], v109, v113, v[50:65]
	v_mfma_f32_32x32x2_f32 v[34:49], v109, v117, v[34:49]
	v_add_u32_e32 v109, v88, v96
	v_add_u32_e32 v96, 0x80, v96
	v_mfma_f32_32x32x2_f32 v[2:17], v121, v113, v[2:17]
	v_add_u32_e32 v113, v88, v92
	v_add_u32_e32 v92, 0x80, v92
	v_mfma_f32_32x32x2_f32 v[18:33], v121, v117, v[18:33]
	v_mfma_f32_32x32x2_f32 v[50:65], v110, v114, v[50:65]
	v_mfma_f32_32x32x2_f32 v[34:49], v110, v118, v[34:49]
	v_add_u32_e32 v110, v88, v95
	v_add_u32_e32 v95, 0x80, v95
	v_mfma_f32_32x32x2_f32 v[2:17], v122, v114, v[2:17]
	v_add_u32_e32 v114, v88, v91
	v_add_u32_e32 v91, 0x80, v91
	v_mfma_f32_32x32x2_f32 v[18:33], v122, v118, v[18:33]
	;; [unrolled: 8-line block ×3, first 2 shown]
	v_mfma_f32_32x32x2_f32 v[50:65], v78, v74, v[50:65]
	v_mfma_f32_32x32x2_f32 v[34:49], v78, v66, v[34:49]
	v_add_u32_e32 v78, v88, v100
	v_add_u32_e32 v100, 0x80, v100
	s_waitcnt lgkmcnt(0)
	v_mfma_f32_32x32x2_f32 v[2:17], v70, v74, v[2:17]
	v_add_u32_e32 v74, v88, v102
	v_add_u32_e32 v102, 0x80, v102
	v_mfma_f32_32x32x2_f32 v[18:33], v70, v66, v[18:33]
	v_add_u32_e32 v66, v88, v106
	buffer_load_dword v66, s[0:3], 0 offen lds
	s_add_i32 m0, s16, 0x400
	v_add_u32_e32 v70, v88, v104
	v_add_u32_e32 v104, 0x80, v104
	v_add_u32_e32 v106, 0x80, v106
	v_mfma_f32_32x32x2_f32 v[50:65], v79, v75, v[50:65]
	v_mfma_f32_32x32x2_f32 v[34:49], v79, v67, v[34:49]
	v_add_u32_e32 v79, v88, v99
	v_add_u32_e32 v99, 0x80, v99
	v_mfma_f32_32x32x2_f32 v[2:17], v71, v75, v[2:17]
	v_add_u32_e32 v75, v88, v101
	v_add_u32_e32 v101, 0x80, v101
	;; [unrolled: 3-line block ×3, first 2 shown]
	buffer_load_dword v67, s[0:3], 0 offen lds
	s_add_i32 m0, s16, 0x800
	v_add_u32_e32 v118, s10, v117
	buffer_load_dword v117, s[0:3], 0 offen lds
	s_add_i32 m0, s16, 0xc00
	v_add_u32_e32 v66, s10, v118
	;; [unrolled: 3-line block ×4, first 2 shown]
	buffer_load_dword v67, s[0:3], 0 offen lds
	v_mfma_f32_32x32x2_f32 v[50:65], v80, v76, v[50:65]
	s_add_i32 m0, s16, 0x1800
	v_add_u32_e32 v103, 0x80, v103
	v_add_u32_e32 v105, 0x80, v105
	v_mfma_f32_32x32x2_f32 v[34:49], v80, v68, v[34:49]
	v_add_u32_e32 v80, s10, v67
	v_add_u32_e32 v117, s10, v80
	buffer_load_dword v80, s[0:3], 0 offen lds
	s_add_i32 m0, s16, 0x1c00
	v_add_u32_e32 v66, s10, v117
	buffer_load_dword v117, s[0:3], 0 offen lds
	s_add_i32 m0, s16, 0x2000
	;; [unrolled: 3-line block ×3, first 2 shown]
	s_nop 0
	buffer_load_dword v67, s[0:3], 0 offen lds
	s_add_i32 m0, s16, 0x2800
	v_mfma_f32_32x32x2_f32 v[2:17], v72, v76, v[2:17]
	v_add_u32_e32 v76, s10, v67
	v_add_u32_e32 v80, s10, v76
	buffer_load_dword v76, s[0:3], 0 offen lds
	s_add_i32 m0, s16, 0x2c00
	v_add_u32_e32 v66, s10, v80
	buffer_load_dword v80, s[0:3], 0 offen lds
	s_add_i32 m0, s16, 0x3000
	;; [unrolled: 3-line block ×3, first 2 shown]
	s_nop 0
	buffer_load_dword v67, s[0:3], 0 offen lds
	s_add_i32 m0, s16, 0x3800
	v_mfma_f32_32x32x2_f32 v[18:33], v72, v68, v[18:33]
	v_add_u32_e32 v68, s10, v67
	v_add_u32_e32 v72, s10, v68
	buffer_load_dword v68, s[0:3], 0 offen lds
	s_add_i32 m0, s16, 0x3c00
	s_nop 0
	buffer_load_dword v72, s[0:3], 0 offen lds
	s_add_i32 m0, s16, 0x4000
	s_nop 0
	;; [unrolled: 3-line block ×4, first 2 shown]
	buffer_load_dword v74, s[12:15], 0 offen lds
	s_add_i32 m0, s16, 0x4c00
	v_mfma_f32_32x32x2_f32 v[50:65], v81, v77, v[50:65]
	buffer_load_dword v75, s[12:15], 0 offen lds
	s_add_i32 m0, s16, 0x5000
	s_nop 0
	buffer_load_dword v78, s[12:15], 0 offen lds
	s_add_i32 m0, s16, 0x5400
	s_nop 0
	;; [unrolled: 3-line block ×5, first 2 shown]
	buffer_load_dword v109, s[12:15], 0 offen lds
	s_add_i32 m0, s16, 0x6400
	v_mfma_f32_32x32x2_f32 v[34:49], v81, v69, v[34:49]
	buffer_load_dword v110, s[12:15], 0 offen lds
	s_add_i32 m0, s16, 0x6800
	s_nop 0
	buffer_load_dword v111, s[12:15], 0 offen lds
	s_add_i32 m0, s16, 0x6c00
	s_nop 0
	;; [unrolled: 3-line block ×5, first 2 shown]
	buffer_load_dword v115, s[12:15], 0 offen lds
	s_add_i32 m0, s16, 0x7c00
	v_mfma_f32_32x32x2_f32 v[2:17], v73, v77, v[2:17]
	buffer_load_dword v116, s[12:15], 0 offen lds
	s_cmp_lg_u32 s11, 0
	v_mfma_f32_32x32x2_f32 v[18:33], v73, v69, v[18:33]
	s_cbranch_scc1 .LBB1_1
; %bb.2:
	;;#ASMSTART
	    s_waitcnt vmcnt(0) 
     s_waitcnt lgkmcnt(0) 
     s_barrier     
	;;#ASMEND
	s_waitcnt vmcnt(0)
	ds_read_b128 v[66:69], v86
	ds_read_b128 v[70:73], v87 offset:16384
	ds_read_b128 v[74:77], v86 offset:16
	;; [unrolled: 1-line block ×8, first 2 shown]
	s_waitcnt lgkmcnt(7)
	v_mfma_f32_32x32x2_f32 v[50:65], v66, v70, v[50:65]
	v_cmp_gt_u32_e32 vcc, 64, v0
	s_waitcnt lgkmcnt(0)
	v_mfma_f32_32x32x2_f32 v[34:49], v66, v104, v[34:49]
	v_mfma_f32_32x32x2_f32 v[50:65], v67, v71, v[50:65]
	v_mfma_f32_32x32x2_f32 v[34:49], v67, v105, v[34:49]
	v_mfma_f32_32x32x2_f32 v[50:65], v68, v72, v[50:65]
	v_mfma_f32_32x32x2_f32 v[34:49], v68, v106, v[34:49]
	v_mfma_f32_32x32x2_f32 v[50:65], v69, v73, v[50:65]
	v_mfma_f32_32x32x2_f32 v[34:49], v69, v107, v[34:49]
	ds_read_b128 v[66:69], v87 offset:24592
	v_mfma_f32_32x32x2_f32 v[50:65], v74, v78, v[50:65]
	s_waitcnt lgkmcnt(0)
	v_mfma_f32_32x32x2_f32 v[34:49], v74, v66, v[34:49]
	v_mfma_f32_32x32x2_f32 v[50:65], v75, v79, v[50:65]
	v_mfma_f32_32x32x2_f32 v[34:49], v75, v67, v[34:49]
	v_mfma_f32_32x32x2_f32 v[50:65], v76, v80, v[50:65]
	v_mfma_f32_32x32x2_f32 v[34:49], v76, v68, v[34:49]
	v_mfma_f32_32x32x2_f32 v[50:65], v77, v81, v[50:65]
	v_mfma_f32_32x32x2_f32 v[34:49], v77, v69, v[34:49]
	ds_read_b128 v[74:77], v87 offset:24608
	v_mfma_f32_32x32x2_f32 v[50:65], v88, v92, v[50:65]
	;; [unrolled: 10-line block ×3, first 2 shown]
	s_waitcnt lgkmcnt(0)
	v_mfma_f32_32x32x2_f32 v[34:49], v96, v88, v[34:49]
	v_mfma_f32_32x32x2_f32 v[50:65], v97, v101, v[50:65]
	v_mfma_f32_32x32x2_f32 v[34:49], v97, v89, v[34:49]
	v_mfma_f32_32x32x2_f32 v[50:65], v98, v102, v[50:65]
	v_mfma_f32_32x32x2_f32 v[34:49], v98, v90, v[34:49]
	v_mfma_f32_32x32x2_f32 v[50:65], v99, v103, v[50:65]
	v_mfma_f32_32x32x2_f32 v[34:49], v99, v91, v[34:49]
	ds_read_b128 v[96:99], v86 offset:8192
	s_waitcnt lgkmcnt(0)
	v_mfma_f32_32x32x2_f32 v[2:17], v96, v70, v[2:17]
	v_mfma_f32_32x32x2_f32 v[18:33], v96, v104, v[18:33]
	;; [unrolled: 1-line block ×7, first 2 shown]
	ds_read_b128 v[70:73], v86 offset:8208
	v_mfma_f32_32x32x2_f32 v[18:33], v99, v107, v[18:33]
	s_waitcnt lgkmcnt(0)
	v_mfma_f32_32x32x2_f32 v[2:17], v70, v78, v[2:17]
	v_mfma_f32_32x32x2_f32 v[18:33], v70, v66, v[18:33]
	v_mov_b32_e32 v66, 0
	v_mfma_f32_32x32x2_f32 v[2:17], v71, v79, v[2:17]
	v_mfma_f32_32x32x2_f32 v[18:33], v71, v67, v[18:33]
	;; [unrolled: 1-line block ×4, first 2 shown]
	v_mov_b32_e32 v68, 0
	v_mfma_f32_32x32x2_f32 v[2:17], v73, v81, v[2:17]
	ds_read_b128 v[78:81], v86 offset:8224
	v_mfma_f32_32x32x2_f32 v[18:33], v73, v69, v[18:33]
	s_waitcnt lgkmcnt(0)
	v_mfma_f32_32x32x2_f32 v[2:17], v78, v92, v[2:17]
	v_mfma_f32_32x32x2_f32 v[18:33], v78, v74, v[18:33]
	;; [unrolled: 1-line block ×7, first 2 shown]
	ds_read_b128 v[92:95], v86 offset:8240
	v_mfma_f32_32x32x2_f32 v[18:33], v81, v77, v[18:33]
	s_waitcnt lgkmcnt(0)
	v_mfma_f32_32x32x2_f32 v[2:17], v92, v100, v[2:17]
	v_mfma_f32_32x32x2_f32 v[18:33], v92, v88, v[18:33]
	;; [unrolled: 1-line block ×8, first 2 shown]
	s_and_saveexec_b64 s[0:1], vcc
; %bb.3:
	v_and_b32_e32 v66, 56, v0
	v_lshlrev_b32_e32 v0, 3, v0
	v_and_b32_e32 v0, 56, v0
	v_lshl_or_b32 v68, v66, 6, v0
	v_lshl_or_b32 v0, s6, 7, v0
	;; [unrolled: 1-line block ×3, first 2 shown]
	v_mad_u64_u32 v[66:67], s[2:3], v66, s9, v[0:1]
; %bb.4:
	s_or_b64 exec, exec, s[0:1]
	v_and_b32_e32 v67, 4, v82
	v_and_b32_e32 v0, 32, v84
	v_and_or_b32 v67, v83, 32, v67
	v_lshlrev_b32_e32 v0, 2, v0
	v_lshlrev_b32_e32 v67, 8, v67
	;; [unrolled: 1-line block ×3, first 2 shown]
	v_or3_b32 v1, v0, v67, v1
	v_lshlrev_b32_e32 v0, 2, v68
	s_mul_i32 s10, s9, -7
	s_waitcnt lgkmcnt(0)
	s_barrier
	ds_write2st64_b32 v1, v50, v51 offset1:1
	ds_write2st64_b32 v1, v52, v53 offset0:2 offset1:3
	ds_write2st64_b32 v1, v56, v57 offset0:10 offset1:11
	;; [unrolled: 1-line block ×7, first 2 shown]
	s_waitcnt lgkmcnt(0)
	s_barrier
	s_and_saveexec_b64 s[6:7], vcc
	s_cbranch_execz .LBB1_6
; %bb.5:
	ds_read_b128 v[50:53], v0
	ds_read_b128 v[54:57], v0 offset:16
	s_lshl_b32 s2, s8, 2
	s_and_b32 s1, s5, 0xffff
	s_mov_b32 s3, 0x20000
	s_mov_b32 s0, s4
	v_lshlrev_b32_e32 v58, 2, v66
	s_waitcnt lgkmcnt(1)
	buffer_store_dwordx4 v[50:53], v58, s[0:3], 0 offen
	v_add_u32_e32 v58, 4, v66
	ds_read_b128 v[50:53], v0 offset:272
	v_lshlrev_b32_e32 v59, 2, v58
	s_waitcnt lgkmcnt(1)
	buffer_store_dwordx4 v[54:57], v59, s[0:3], 0 offen
	ds_read_b128 v[54:57], v0 offset:256
	v_add_lshl_u32 v58, v58, s9, 2
	s_waitcnt lgkmcnt(1)
	buffer_store_dwordx4 v[50:53], v58, s[0:3], 0 offen
	v_add_u32_e32 v58, s9, v66
	ds_read_b128 v[50:53], v0 offset:512
	v_lshlrev_b32_e32 v59, 2, v58
	s_waitcnt lgkmcnt(1)
	buffer_store_dwordx4 v[54:57], v59, s[0:3], 0 offen
	ds_read_b128 v[54:57], v0 offset:528
	v_add_u32_e32 v58, s9, v58
	v_lshlrev_b32_e32 v59, 2, v58
	s_waitcnt lgkmcnt(1)
	buffer_store_dwordx4 v[50:53], v59, s[0:3], 0 offen
	v_add_u32_e32 v59, 4, v58
	ds_read_b128 v[50:53], v0 offset:784
	v_lshlrev_b32_e32 v60, 2, v59
	s_waitcnt lgkmcnt(1)
	buffer_store_dwordx4 v[54:57], v60, s[0:3], 0 offen
	ds_read_b128 v[54:57], v0 offset:768
	v_add_lshl_u32 v59, v59, s9, 2
	s_waitcnt lgkmcnt(1)
	buffer_store_dwordx4 v[50:53], v59, s[0:3], 0 offen
	v_add_u32_e32 v58, s9, v58
	ds_read_b128 v[50:53], v0 offset:1024
	v_lshlrev_b32_e32 v59, 2, v58
	s_waitcnt lgkmcnt(1)
	buffer_store_dwordx4 v[54:57], v59, s[0:3], 0 offen
	ds_read_b128 v[54:57], v0 offset:1040
	v_add_u32_e32 v58, s9, v58
	v_lshlrev_b32_e32 v59, 2, v58
	s_waitcnt lgkmcnt(1)
	buffer_store_dwordx4 v[50:53], v59, s[0:3], 0 offen
	v_add_u32_e32 v59, 4, v58
	ds_read_b128 v[50:53], v0 offset:1296
	v_lshlrev_b32_e32 v60, 2, v59
	s_waitcnt lgkmcnt(1)
	buffer_store_dwordx4 v[54:57], v60, s[0:3], 0 offen
	ds_read_b128 v[54:57], v0 offset:1280
	v_add_lshl_u32 v59, v59, s9, 2
	s_waitcnt lgkmcnt(1)
	buffer_store_dwordx4 v[50:53], v59, s[0:3], 0 offen
	v_add_u32_e32 v58, s9, v58
	ds_read_b128 v[50:53], v0 offset:1536
	v_lshlrev_b32_e32 v59, 2, v58
	s_waitcnt lgkmcnt(1)
	buffer_store_dwordx4 v[54:57], v59, s[0:3], 0 offen
	ds_read_b128 v[54:57], v0 offset:1552
	v_add_u32_e32 v58, s9, v58
	v_lshlrev_b32_e32 v59, 2, v58
	s_waitcnt lgkmcnt(1)
	buffer_store_dwordx4 v[50:53], v59, s[0:3], 0 offen
	v_add_u32_e32 v59, 4, v58
	ds_read_b128 v[50:53], v0 offset:1808
	v_lshlrev_b32_e32 v60, 2, v59
	s_waitcnt lgkmcnt(1)
	buffer_store_dwordx4 v[54:57], v60, s[0:3], 0 offen
	ds_read_b128 v[54:57], v0 offset:1792
	v_add_lshl_u32 v59, v59, s9, 2
	s_waitcnt lgkmcnt(1)
	buffer_store_dwordx4 v[50:53], v59, s[0:3], 0 offen
	s_nop 1
	v_add_u32_e32 v50, s9, v58
	v_lshlrev_b32_e32 v51, 2, v50
	v_add3_u32 v66, s10, 64, v50
	s_waitcnt lgkmcnt(0)
	buffer_store_dwordx4 v[54:57], v51, s[0:3], 0 offen
.LBB1_6:
	s_or_b64 exec, exec, s[6:7]
	s_waitcnt lgkmcnt(0)
	s_barrier
	ds_write2st64_b32 v1, v34, v35 offset1:1
	ds_write2st64_b32 v1, v36, v37 offset0:2 offset1:3
	ds_write2st64_b32 v1, v40, v41 offset0:10 offset1:11
	;; [unrolled: 1-line block ×7, first 2 shown]
	s_waitcnt lgkmcnt(0)
	s_barrier
	s_and_saveexec_b64 s[6:7], vcc
	s_cbranch_execz .LBB1_8
; %bb.7:
	ds_read_b128 v[34:37], v0
	ds_read_b128 v[38:41], v0 offset:16
	s_lshl_b32 s2, s8, 2
	s_and_b32 s1, s5, 0xffff
	s_mov_b32 s3, 0x20000
	s_mov_b32 s0, s4
	v_lshlrev_b32_e32 v42, 2, v66
	s_waitcnt lgkmcnt(1)
	buffer_store_dwordx4 v[34:37], v42, s[0:3], 0 offen
	v_add_u32_e32 v42, 4, v66
	ds_read_b128 v[34:37], v0 offset:272
	v_lshlrev_b32_e32 v43, 2, v42
	s_waitcnt lgkmcnt(1)
	buffer_store_dwordx4 v[38:41], v43, s[0:3], 0 offen
	ds_read_b128 v[38:41], v0 offset:256
	v_add_lshl_u32 v42, v42, s9, 2
	s_waitcnt lgkmcnt(1)
	buffer_store_dwordx4 v[34:37], v42, s[0:3], 0 offen
	v_add_u32_e32 v42, s9, v66
	ds_read_b128 v[34:37], v0 offset:512
	v_lshlrev_b32_e32 v43, 2, v42
	s_waitcnt lgkmcnt(1)
	buffer_store_dwordx4 v[38:41], v43, s[0:3], 0 offen
	ds_read_b128 v[38:41], v0 offset:528
	v_add_u32_e32 v42, s9, v42
	v_lshlrev_b32_e32 v43, 2, v42
	s_waitcnt lgkmcnt(1)
	buffer_store_dwordx4 v[34:37], v43, s[0:3], 0 offen
	v_add_u32_e32 v43, 4, v42
	ds_read_b128 v[34:37], v0 offset:784
	v_lshlrev_b32_e32 v44, 2, v43
	s_waitcnt lgkmcnt(1)
	buffer_store_dwordx4 v[38:41], v44, s[0:3], 0 offen
	ds_read_b128 v[38:41], v0 offset:768
	v_add_lshl_u32 v43, v43, s9, 2
	s_waitcnt lgkmcnt(1)
	buffer_store_dwordx4 v[34:37], v43, s[0:3], 0 offen
	v_add_u32_e32 v42, s9, v42
	ds_read_b128 v[34:37], v0 offset:1024
	v_lshlrev_b32_e32 v43, 2, v42
	s_waitcnt lgkmcnt(1)
	buffer_store_dwordx4 v[38:41], v43, s[0:3], 0 offen
	ds_read_b128 v[38:41], v0 offset:1040
	v_add_u32_e32 v42, s9, v42
	;; [unrolled: 19-line block ×3, first 2 shown]
	v_lshlrev_b32_e32 v43, 2, v42
	s_waitcnt lgkmcnt(1)
	buffer_store_dwordx4 v[34:37], v43, s[0:3], 0 offen
	v_add_u32_e32 v43, 4, v42
	ds_read_b128 v[34:37], v0 offset:1808
	v_lshlrev_b32_e32 v44, 2, v43
	s_waitcnt lgkmcnt(1)
	buffer_store_dwordx4 v[38:41], v44, s[0:3], 0 offen
	ds_read_b128 v[38:41], v0 offset:1792
	v_add_lshl_u32 v43, v43, s9, 2
	s_waitcnt lgkmcnt(1)
	buffer_store_dwordx4 v[34:37], v43, s[0:3], 0 offen
	s_nop 1
	v_add_u32_e32 v34, s9, v42
	v_lshlrev_b32_e32 v35, 2, v34
	s_waitcnt lgkmcnt(0)
	buffer_store_dwordx4 v[38:41], v35, s[0:3], 0 offen
	v_mad_u64_u32 v[66:67], s[0:1], s9, 57, v[34:35]
.LBB1_8:
	s_or_b64 exec, exec, s[6:7]
	s_waitcnt lgkmcnt(0)
	s_barrier
	ds_write2st64_b32 v1, v18, v19 offset1:1
	ds_write2st64_b32 v1, v20, v21 offset0:2 offset1:3
	ds_write2st64_b32 v1, v24, v25 offset0:10 offset1:11
	;; [unrolled: 1-line block ×7, first 2 shown]
	s_waitcnt lgkmcnt(0)
	s_barrier
	s_and_saveexec_b64 s[6:7], vcc
	s_cbranch_execz .LBB1_10
; %bb.9:
	ds_read_b128 v[18:21], v0
	ds_read_b128 v[22:25], v0 offset:16
	s_lshl_b32 s2, s8, 2
	s_and_b32 s1, s5, 0xffff
	s_mov_b32 s3, 0x20000
	s_mov_b32 s0, s4
	v_lshlrev_b32_e32 v26, 2, v66
	s_waitcnt lgkmcnt(1)
	buffer_store_dwordx4 v[18:21], v26, s[0:3], 0 offen
	v_add_u32_e32 v26, 4, v66
	ds_read_b128 v[18:21], v0 offset:272
	v_lshlrev_b32_e32 v27, 2, v26
	s_waitcnt lgkmcnt(1)
	buffer_store_dwordx4 v[22:25], v27, s[0:3], 0 offen
	ds_read_b128 v[22:25], v0 offset:256
	v_add_lshl_u32 v26, v26, s9, 2
	s_waitcnt lgkmcnt(1)
	buffer_store_dwordx4 v[18:21], v26, s[0:3], 0 offen
	v_add_u32_e32 v26, s9, v66
	ds_read_b128 v[18:21], v0 offset:512
	v_lshlrev_b32_e32 v27, 2, v26
	s_waitcnt lgkmcnt(1)
	buffer_store_dwordx4 v[22:25], v27, s[0:3], 0 offen
	ds_read_b128 v[22:25], v0 offset:528
	v_add_u32_e32 v26, s9, v26
	v_lshlrev_b32_e32 v27, 2, v26
	s_waitcnt lgkmcnt(1)
	buffer_store_dwordx4 v[18:21], v27, s[0:3], 0 offen
	v_add_u32_e32 v27, 4, v26
	ds_read_b128 v[18:21], v0 offset:784
	v_lshlrev_b32_e32 v28, 2, v27
	s_waitcnt lgkmcnt(1)
	buffer_store_dwordx4 v[22:25], v28, s[0:3], 0 offen
	ds_read_b128 v[22:25], v0 offset:768
	v_add_lshl_u32 v27, v27, s9, 2
	s_waitcnt lgkmcnt(1)
	buffer_store_dwordx4 v[18:21], v27, s[0:3], 0 offen
	v_add_u32_e32 v26, s9, v26
	ds_read_b128 v[18:21], v0 offset:1024
	v_lshlrev_b32_e32 v27, 2, v26
	s_waitcnt lgkmcnt(1)
	buffer_store_dwordx4 v[22:25], v27, s[0:3], 0 offen
	ds_read_b128 v[22:25], v0 offset:1040
	v_add_u32_e32 v26, s9, v26
	;; [unrolled: 19-line block ×3, first 2 shown]
	v_lshlrev_b32_e32 v27, 2, v26
	s_waitcnt lgkmcnt(1)
	buffer_store_dwordx4 v[18:21], v27, s[0:3], 0 offen
	v_add_u32_e32 v27, 4, v26
	ds_read_b128 v[18:21], v0 offset:1808
	v_lshlrev_b32_e32 v28, 2, v27
	s_waitcnt lgkmcnt(1)
	buffer_store_dwordx4 v[22:25], v28, s[0:3], 0 offen
	ds_read_b128 v[22:25], v0 offset:1792
	v_add_lshl_u32 v27, v27, s9, 2
	s_waitcnt lgkmcnt(1)
	buffer_store_dwordx4 v[18:21], v27, s[0:3], 0 offen
	s_nop 1
	v_add_u32_e32 v18, s9, v26
	v_lshlrev_b32_e32 v19, 2, v18
	s_waitcnt lgkmcnt(0)
	buffer_store_dwordx4 v[22:25], v19, s[0:3], 0 offen
	s_sub_i32 s0, s10, 64
	v_add_u32_e32 v66, s0, v18
.LBB1_10:
	s_or_b64 exec, exec, s[6:7]
	s_waitcnt lgkmcnt(0)
	s_barrier
	ds_write2st64_b32 v1, v2, v3 offset1:1
	ds_write2st64_b32 v1, v4, v5 offset0:2 offset1:3
	ds_write2st64_b32 v1, v8, v9 offset0:10 offset1:11
	;; [unrolled: 1-line block ×7, first 2 shown]
	s_waitcnt lgkmcnt(0)
	s_barrier
	s_and_saveexec_b64 s[0:1], vcc
	s_cbranch_execz .LBB1_12
; %bb.11:
	ds_read_b128 v[2:5], v0
	ds_read_b128 v[6:9], v0 offset:16
	s_lshl_b32 s6, s8, 2
	s_and_b32 s5, s5, 0xffff
	s_mov_b32 s7, 0x20000
	v_lshlrev_b32_e32 v1, 2, v66
	s_waitcnt lgkmcnt(1)
	buffer_store_dwordx4 v[2:5], v1, s[4:7], 0 offen
	ds_read_b128 v[2:5], v0 offset:272
	v_add_u32_e32 v1, 4, v66
	v_lshlrev_b32_e32 v10, 2, v1
	s_waitcnt lgkmcnt(1)
	buffer_store_dwordx4 v[6:9], v10, s[4:7], 0 offen
	v_add_lshl_u32 v1, v1, s9, 2
	ds_read_b128 v[6:9], v0 offset:256
	s_waitcnt lgkmcnt(1)
	buffer_store_dwordx4 v[2:5], v1, s[4:7], 0 offen
	ds_read_b128 v[2:5], v0 offset:512
	v_add_u32_e32 v1, s9, v66
	v_lshlrev_b32_e32 v10, 2, v1
	v_add_u32_e32 v1, s9, v1
	s_waitcnt lgkmcnt(1)
	buffer_store_dwordx4 v[6:9], v10, s[4:7], 0 offen
	v_lshlrev_b32_e32 v10, 2, v1
	ds_read_b128 v[6:9], v0 offset:528
	s_waitcnt lgkmcnt(1)
	buffer_store_dwordx4 v[2:5], v10, s[4:7], 0 offen
	ds_read_b128 v[2:5], v0 offset:784
	v_add_u32_e32 v10, 4, v1
	v_lshlrev_b32_e32 v11, 2, v10
	s_waitcnt lgkmcnt(1)
	buffer_store_dwordx4 v[6:9], v11, s[4:7], 0 offen
	v_add_lshl_u32 v10, v10, s9, 2
	ds_read_b128 v[6:9], v0 offset:768
	s_waitcnt lgkmcnt(1)
	buffer_store_dwordx4 v[2:5], v10, s[4:7], 0 offen
	ds_read_b128 v[2:5], v0 offset:1024
	v_add_u32_e32 v1, s9, v1
	v_lshlrev_b32_e32 v10, 2, v1
	v_add_u32_e32 v1, s9, v1
	s_waitcnt lgkmcnt(1)
	buffer_store_dwordx4 v[6:9], v10, s[4:7], 0 offen
	v_lshlrev_b32_e32 v10, 2, v1
	ds_read_b128 v[6:9], v0 offset:1040
	;; [unrolled: 19-line block ×3, first 2 shown]
	s_waitcnt lgkmcnt(1)
	buffer_store_dwordx4 v[2:5], v10, s[4:7], 0 offen
	ds_read_b128 v[2:5], v0 offset:1808
	ds_read_b128 v[10:13], v0 offset:1792
	v_add_u32_e32 v14, 4, v1
	v_lshlrev_b32_e32 v15, 2, v14
	v_add_lshl_u32 v0, v14, s9, 2
	s_waitcnt lgkmcnt(2)
	buffer_store_dwordx4 v[6:9], v15, s[4:7], 0 offen
	s_waitcnt lgkmcnt(1)
	buffer_store_dwordx4 v[2:5], v0, s[4:7], 0 offen
	v_add_lshl_u32 v0, v1, s9, 2
	s_waitcnt lgkmcnt(0)
	buffer_store_dwordx4 v[10:13], v0, s[4:7], 0 offen
.LBB1_12:
	s_endpgm
	.section	.rodata,"a",@progbits
	.p2align	6, 0x0
	.amdhsa_kernel _ZN2ck51kernel_gemm_multiple_d_xdl_cshuffle_lds_direct_loadINS_48GridwiseGemmMultipleD_Xdl_CShuffle_LdsDirectLoadINS_13tensor_layout4gemm8RowMajorENS3_11ColumnMajorENS_5TupleIJEEES4_fffffS7_fNS_16tensor_operation12element_wise11PassThroughESA_SA_LNS_25InMemoryDataOperationEnumE0ELNS8_6device18GemmSpecializationE0ELi1ELi256ELi128ELi128ELi32ELi8ELi8ELi32ELi32ELi2ELi2ENS_8SequenceIJLi4ELi8ELi8EEEENSE_IJLi1ELi0ELi2EEEELi2ELi1ELi1ESF_SG_Li2ELi1ELi1ELi1ELi1ENSE_IJLi1ELi8ELi1ELi8EEEELi4ELNS_13LoopSchedulerE0ELNS_15PipelineVersionE2EfEEffS7_fSA_SA_SA_NS_16TensorDescriptorINS6_IJNS_5EmbedINS6_IJiiEEENS6_IJiNS_17integral_constantIiLi1EEEEEELb0EEENS_11PassThroughIiEEST_NS_7UnMergeINS6_IJiNSO_IiLi8EEEEEELb0EEEST_EEENS6_IJNSE_IJLi0EEEENSE_IJLi1EEEENSE_IJLi2EEEENSE_IJLi4EEEENSE_IJLi3EEEEEEENS6_IJNSE_IJLi1ELi2EEEES13_S12_NSE_IJLi5ELi6EEEENSE_IJLi7EEEEEEENSE_IJLi5ELi7ELi6EEEElEES1A_S7_NSL_INS6_IJSR_ST_ST_NSU_INS6_IJiNSO_IiLi128EEEEEELb0EEES1D_EEENS6_IJSZ_S10_S11_S13_S12_EEENS6_IJS15_S13_S12_S16_NSE_IJLi7ELi8EEEEEEENSE_IJLi5ELi6ELi7ELi8EEEElEENS_31BlockToCTileMap_M00_N0_M01AdaptILi128ELi128ENSL_INS6_IJSR_ST_ST_EEENS6_IJSZ_S10_S11_EEENS6_IJS15_S13_S12_EEENSE_IJLi3ELi4EEEElEEiEELb1ELi2EEEvPKT0_PKT1_T2_PT3_T4_T5_T6_T7_T8_T9_T10_T11_
		.amdhsa_group_segment_fixed_size 32768
		.amdhsa_private_segment_fixed_size 0
		.amdhsa_kernarg_size 236
		.amdhsa_user_sgpr_count 2
		.amdhsa_user_sgpr_dispatch_ptr 0
		.amdhsa_user_sgpr_queue_ptr 0
		.amdhsa_user_sgpr_kernarg_segment_ptr 1
		.amdhsa_user_sgpr_dispatch_id 0
		.amdhsa_user_sgpr_kernarg_preload_length 0
		.amdhsa_user_sgpr_kernarg_preload_offset 0
		.amdhsa_user_sgpr_private_segment_size 0
		.amdhsa_uses_dynamic_stack 0
		.amdhsa_enable_private_segment 0
		.amdhsa_system_sgpr_workgroup_id_x 1
		.amdhsa_system_sgpr_workgroup_id_y 0
		.amdhsa_system_sgpr_workgroup_id_z 0
		.amdhsa_system_sgpr_workgroup_info 0
		.amdhsa_system_vgpr_workitem_id 0
		.amdhsa_next_free_vgpr 124
		.amdhsa_next_free_sgpr 96
		.amdhsa_accum_offset 124
		.amdhsa_reserve_vcc 1
		.amdhsa_float_round_mode_32 0
		.amdhsa_float_round_mode_16_64 0
		.amdhsa_float_denorm_mode_32 3
		.amdhsa_float_denorm_mode_16_64 3
		.amdhsa_dx10_clamp 1
		.amdhsa_ieee_mode 1
		.amdhsa_fp16_overflow 0
		.amdhsa_tg_split 0
		.amdhsa_exception_fp_ieee_invalid_op 0
		.amdhsa_exception_fp_denorm_src 0
		.amdhsa_exception_fp_ieee_div_zero 0
		.amdhsa_exception_fp_ieee_overflow 0
		.amdhsa_exception_fp_ieee_underflow 0
		.amdhsa_exception_fp_ieee_inexact 0
		.amdhsa_exception_int_div_zero 0
	.end_amdhsa_kernel
	.section	.text._ZN2ck51kernel_gemm_multiple_d_xdl_cshuffle_lds_direct_loadINS_48GridwiseGemmMultipleD_Xdl_CShuffle_LdsDirectLoadINS_13tensor_layout4gemm8RowMajorENS3_11ColumnMajorENS_5TupleIJEEES4_fffffS7_fNS_16tensor_operation12element_wise11PassThroughESA_SA_LNS_25InMemoryDataOperationEnumE0ELNS8_6device18GemmSpecializationE0ELi1ELi256ELi128ELi128ELi32ELi8ELi8ELi32ELi32ELi2ELi2ENS_8SequenceIJLi4ELi8ELi8EEEENSE_IJLi1ELi0ELi2EEEELi2ELi1ELi1ESF_SG_Li2ELi1ELi1ELi1ELi1ENSE_IJLi1ELi8ELi1ELi8EEEELi4ELNS_13LoopSchedulerE0ELNS_15PipelineVersionE2EfEEffS7_fSA_SA_SA_NS_16TensorDescriptorINS6_IJNS_5EmbedINS6_IJiiEEENS6_IJiNS_17integral_constantIiLi1EEEEEELb0EEENS_11PassThroughIiEEST_NS_7UnMergeINS6_IJiNSO_IiLi8EEEEEELb0EEEST_EEENS6_IJNSE_IJLi0EEEENSE_IJLi1EEEENSE_IJLi2EEEENSE_IJLi4EEEENSE_IJLi3EEEEEEENS6_IJNSE_IJLi1ELi2EEEES13_S12_NSE_IJLi5ELi6EEEENSE_IJLi7EEEEEEENSE_IJLi5ELi7ELi6EEEElEES1A_S7_NSL_INS6_IJSR_ST_ST_NSU_INS6_IJiNSO_IiLi128EEEEEELb0EEES1D_EEENS6_IJSZ_S10_S11_S13_S12_EEENS6_IJS15_S13_S12_S16_NSE_IJLi7ELi8EEEEEEENSE_IJLi5ELi6ELi7ELi8EEEElEENS_31BlockToCTileMap_M00_N0_M01AdaptILi128ELi128ENSL_INS6_IJSR_ST_ST_EEENS6_IJSZ_S10_S11_EEENS6_IJS15_S13_S12_EEENSE_IJLi3ELi4EEEElEEiEELb1ELi2EEEvPKT0_PKT1_T2_PT3_T4_T5_T6_T7_T8_T9_T10_T11_,"axG",@progbits,_ZN2ck51kernel_gemm_multiple_d_xdl_cshuffle_lds_direct_loadINS_48GridwiseGemmMultipleD_Xdl_CShuffle_LdsDirectLoadINS_13tensor_layout4gemm8RowMajorENS3_11ColumnMajorENS_5TupleIJEEES4_fffffS7_fNS_16tensor_operation12element_wise11PassThroughESA_SA_LNS_25InMemoryDataOperationEnumE0ELNS8_6device18GemmSpecializationE0ELi1ELi256ELi128ELi128ELi32ELi8ELi8ELi32ELi32ELi2ELi2ENS_8SequenceIJLi4ELi8ELi8EEEENSE_IJLi1ELi0ELi2EEEELi2ELi1ELi1ESF_SG_Li2ELi1ELi1ELi1ELi1ENSE_IJLi1ELi8ELi1ELi8EEEELi4ELNS_13LoopSchedulerE0ELNS_15PipelineVersionE2EfEEffS7_fSA_SA_SA_NS_16TensorDescriptorINS6_IJNS_5EmbedINS6_IJiiEEENS6_IJiNS_17integral_constantIiLi1EEEEEELb0EEENS_11PassThroughIiEEST_NS_7UnMergeINS6_IJiNSO_IiLi8EEEEEELb0EEEST_EEENS6_IJNSE_IJLi0EEEENSE_IJLi1EEEENSE_IJLi2EEEENSE_IJLi4EEEENSE_IJLi3EEEEEEENS6_IJNSE_IJLi1ELi2EEEES13_S12_NSE_IJLi5ELi6EEEENSE_IJLi7EEEEEEENSE_IJLi5ELi7ELi6EEEElEES1A_S7_NSL_INS6_IJSR_ST_ST_NSU_INS6_IJiNSO_IiLi128EEEEEELb0EEES1D_EEENS6_IJSZ_S10_S11_S13_S12_EEENS6_IJS15_S13_S12_S16_NSE_IJLi7ELi8EEEEEEENSE_IJLi5ELi6ELi7ELi8EEEElEENS_31BlockToCTileMap_M00_N0_M01AdaptILi128ELi128ENSL_INS6_IJSR_ST_ST_EEENS6_IJSZ_S10_S11_EEENS6_IJS15_S13_S12_EEENSE_IJLi3ELi4EEEElEEiEELb1ELi2EEEvPKT0_PKT1_T2_PT3_T4_T5_T6_T7_T8_T9_T10_T11_,comdat
.Lfunc_end1:
	.size	_ZN2ck51kernel_gemm_multiple_d_xdl_cshuffle_lds_direct_loadINS_48GridwiseGemmMultipleD_Xdl_CShuffle_LdsDirectLoadINS_13tensor_layout4gemm8RowMajorENS3_11ColumnMajorENS_5TupleIJEEES4_fffffS7_fNS_16tensor_operation12element_wise11PassThroughESA_SA_LNS_25InMemoryDataOperationEnumE0ELNS8_6device18GemmSpecializationE0ELi1ELi256ELi128ELi128ELi32ELi8ELi8ELi32ELi32ELi2ELi2ENS_8SequenceIJLi4ELi8ELi8EEEENSE_IJLi1ELi0ELi2EEEELi2ELi1ELi1ESF_SG_Li2ELi1ELi1ELi1ELi1ENSE_IJLi1ELi8ELi1ELi8EEEELi4ELNS_13LoopSchedulerE0ELNS_15PipelineVersionE2EfEEffS7_fSA_SA_SA_NS_16TensorDescriptorINS6_IJNS_5EmbedINS6_IJiiEEENS6_IJiNS_17integral_constantIiLi1EEEEEELb0EEENS_11PassThroughIiEEST_NS_7UnMergeINS6_IJiNSO_IiLi8EEEEEELb0EEEST_EEENS6_IJNSE_IJLi0EEEENSE_IJLi1EEEENSE_IJLi2EEEENSE_IJLi4EEEENSE_IJLi3EEEEEEENS6_IJNSE_IJLi1ELi2EEEES13_S12_NSE_IJLi5ELi6EEEENSE_IJLi7EEEEEEENSE_IJLi5ELi7ELi6EEEElEES1A_S7_NSL_INS6_IJSR_ST_ST_NSU_INS6_IJiNSO_IiLi128EEEEEELb0EEES1D_EEENS6_IJSZ_S10_S11_S13_S12_EEENS6_IJS15_S13_S12_S16_NSE_IJLi7ELi8EEEEEEENSE_IJLi5ELi6ELi7ELi8EEEElEENS_31BlockToCTileMap_M00_N0_M01AdaptILi128ELi128ENSL_INS6_IJSR_ST_ST_EEENS6_IJSZ_S10_S11_EEENS6_IJS15_S13_S12_EEENSE_IJLi3ELi4EEEElEEiEELb1ELi2EEEvPKT0_PKT1_T2_PT3_T4_T5_T6_T7_T8_T9_T10_T11_, .Lfunc_end1-_ZN2ck51kernel_gemm_multiple_d_xdl_cshuffle_lds_direct_loadINS_48GridwiseGemmMultipleD_Xdl_CShuffle_LdsDirectLoadINS_13tensor_layout4gemm8RowMajorENS3_11ColumnMajorENS_5TupleIJEEES4_fffffS7_fNS_16tensor_operation12element_wise11PassThroughESA_SA_LNS_25InMemoryDataOperationEnumE0ELNS8_6device18GemmSpecializationE0ELi1ELi256ELi128ELi128ELi32ELi8ELi8ELi32ELi32ELi2ELi2ENS_8SequenceIJLi4ELi8ELi8EEEENSE_IJLi1ELi0ELi2EEEELi2ELi1ELi1ESF_SG_Li2ELi1ELi1ELi1ELi1ENSE_IJLi1ELi8ELi1ELi8EEEELi4ELNS_13LoopSchedulerE0ELNS_15PipelineVersionE2EfEEffS7_fSA_SA_SA_NS_16TensorDescriptorINS6_IJNS_5EmbedINS6_IJiiEEENS6_IJiNS_17integral_constantIiLi1EEEEEELb0EEENS_11PassThroughIiEEST_NS_7UnMergeINS6_IJiNSO_IiLi8EEEEEELb0EEEST_EEENS6_IJNSE_IJLi0EEEENSE_IJLi1EEEENSE_IJLi2EEEENSE_IJLi4EEEENSE_IJLi3EEEEEEENS6_IJNSE_IJLi1ELi2EEEES13_S12_NSE_IJLi5ELi6EEEENSE_IJLi7EEEEEEENSE_IJLi5ELi7ELi6EEEElEES1A_S7_NSL_INS6_IJSR_ST_ST_NSU_INS6_IJiNSO_IiLi128EEEEEELb0EEES1D_EEENS6_IJSZ_S10_S11_S13_S12_EEENS6_IJS15_S13_S12_S16_NSE_IJLi7ELi8EEEEEEENSE_IJLi5ELi6ELi7ELi8EEEElEENS_31BlockToCTileMap_M00_N0_M01AdaptILi128ELi128ENSL_INS6_IJSR_ST_ST_EEENS6_IJSZ_S10_S11_EEENS6_IJS15_S13_S12_EEENSE_IJLi3ELi4EEEElEEiEELb1ELi2EEEvPKT0_PKT1_T2_PT3_T4_T5_T6_T7_T8_T9_T10_T11_
                                        ; -- End function
	.set _ZN2ck51kernel_gemm_multiple_d_xdl_cshuffle_lds_direct_loadINS_48GridwiseGemmMultipleD_Xdl_CShuffle_LdsDirectLoadINS_13tensor_layout4gemm8RowMajorENS3_11ColumnMajorENS_5TupleIJEEES4_fffffS7_fNS_16tensor_operation12element_wise11PassThroughESA_SA_LNS_25InMemoryDataOperationEnumE0ELNS8_6device18GemmSpecializationE0ELi1ELi256ELi128ELi128ELi32ELi8ELi8ELi32ELi32ELi2ELi2ENS_8SequenceIJLi4ELi8ELi8EEEENSE_IJLi1ELi0ELi2EEEELi2ELi1ELi1ESF_SG_Li2ELi1ELi1ELi1ELi1ENSE_IJLi1ELi8ELi1ELi8EEEELi4ELNS_13LoopSchedulerE0ELNS_15PipelineVersionE2EfEEffS7_fSA_SA_SA_NS_16TensorDescriptorINS6_IJNS_5EmbedINS6_IJiiEEENS6_IJiNS_17integral_constantIiLi1EEEEEELb0EEENS_11PassThroughIiEEST_NS_7UnMergeINS6_IJiNSO_IiLi8EEEEEELb0EEEST_EEENS6_IJNSE_IJLi0EEEENSE_IJLi1EEEENSE_IJLi2EEEENSE_IJLi4EEEENSE_IJLi3EEEEEEENS6_IJNSE_IJLi1ELi2EEEES13_S12_NSE_IJLi5ELi6EEEENSE_IJLi7EEEEEEENSE_IJLi5ELi7ELi6EEEElEES1A_S7_NSL_INS6_IJSR_ST_ST_NSU_INS6_IJiNSO_IiLi128EEEEEELb0EEES1D_EEENS6_IJSZ_S10_S11_S13_S12_EEENS6_IJS15_S13_S12_S16_NSE_IJLi7ELi8EEEEEEENSE_IJLi5ELi6ELi7ELi8EEEElEENS_31BlockToCTileMap_M00_N0_M01AdaptILi128ELi128ENSL_INS6_IJSR_ST_ST_EEENS6_IJSZ_S10_S11_EEENS6_IJS15_S13_S12_EEENSE_IJLi3ELi4EEEElEEiEELb1ELi2EEEvPKT0_PKT1_T2_PT3_T4_T5_T6_T7_T8_T9_T10_T11_.num_vgpr, 124
	.set _ZN2ck51kernel_gemm_multiple_d_xdl_cshuffle_lds_direct_loadINS_48GridwiseGemmMultipleD_Xdl_CShuffle_LdsDirectLoadINS_13tensor_layout4gemm8RowMajorENS3_11ColumnMajorENS_5TupleIJEEES4_fffffS7_fNS_16tensor_operation12element_wise11PassThroughESA_SA_LNS_25InMemoryDataOperationEnumE0ELNS8_6device18GemmSpecializationE0ELi1ELi256ELi128ELi128ELi32ELi8ELi8ELi32ELi32ELi2ELi2ENS_8SequenceIJLi4ELi8ELi8EEEENSE_IJLi1ELi0ELi2EEEELi2ELi1ELi1ESF_SG_Li2ELi1ELi1ELi1ELi1ENSE_IJLi1ELi8ELi1ELi8EEEELi4ELNS_13LoopSchedulerE0ELNS_15PipelineVersionE2EfEEffS7_fSA_SA_SA_NS_16TensorDescriptorINS6_IJNS_5EmbedINS6_IJiiEEENS6_IJiNS_17integral_constantIiLi1EEEEEELb0EEENS_11PassThroughIiEEST_NS_7UnMergeINS6_IJiNSO_IiLi8EEEEEELb0EEEST_EEENS6_IJNSE_IJLi0EEEENSE_IJLi1EEEENSE_IJLi2EEEENSE_IJLi4EEEENSE_IJLi3EEEEEEENS6_IJNSE_IJLi1ELi2EEEES13_S12_NSE_IJLi5ELi6EEEENSE_IJLi7EEEEEEENSE_IJLi5ELi7ELi6EEEElEES1A_S7_NSL_INS6_IJSR_ST_ST_NSU_INS6_IJiNSO_IiLi128EEEEEELb0EEES1D_EEENS6_IJSZ_S10_S11_S13_S12_EEENS6_IJS15_S13_S12_S16_NSE_IJLi7ELi8EEEEEEENSE_IJLi5ELi6ELi7ELi8EEEElEENS_31BlockToCTileMap_M00_N0_M01AdaptILi128ELi128ENSL_INS6_IJSR_ST_ST_EEENS6_IJSZ_S10_S11_EEENS6_IJS15_S13_S12_EEENSE_IJLi3ELi4EEEElEEiEELb1ELi2EEEvPKT0_PKT1_T2_PT3_T4_T5_T6_T7_T8_T9_T10_T11_.num_agpr, 0
	.set _ZN2ck51kernel_gemm_multiple_d_xdl_cshuffle_lds_direct_loadINS_48GridwiseGemmMultipleD_Xdl_CShuffle_LdsDirectLoadINS_13tensor_layout4gemm8RowMajorENS3_11ColumnMajorENS_5TupleIJEEES4_fffffS7_fNS_16tensor_operation12element_wise11PassThroughESA_SA_LNS_25InMemoryDataOperationEnumE0ELNS8_6device18GemmSpecializationE0ELi1ELi256ELi128ELi128ELi32ELi8ELi8ELi32ELi32ELi2ELi2ENS_8SequenceIJLi4ELi8ELi8EEEENSE_IJLi1ELi0ELi2EEEELi2ELi1ELi1ESF_SG_Li2ELi1ELi1ELi1ELi1ENSE_IJLi1ELi8ELi1ELi8EEEELi4ELNS_13LoopSchedulerE0ELNS_15PipelineVersionE2EfEEffS7_fSA_SA_SA_NS_16TensorDescriptorINS6_IJNS_5EmbedINS6_IJiiEEENS6_IJiNS_17integral_constantIiLi1EEEEEELb0EEENS_11PassThroughIiEEST_NS_7UnMergeINS6_IJiNSO_IiLi8EEEEEELb0EEEST_EEENS6_IJNSE_IJLi0EEEENSE_IJLi1EEEENSE_IJLi2EEEENSE_IJLi4EEEENSE_IJLi3EEEEEEENS6_IJNSE_IJLi1ELi2EEEES13_S12_NSE_IJLi5ELi6EEEENSE_IJLi7EEEEEEENSE_IJLi5ELi7ELi6EEEElEES1A_S7_NSL_INS6_IJSR_ST_ST_NSU_INS6_IJiNSO_IiLi128EEEEEELb0EEES1D_EEENS6_IJSZ_S10_S11_S13_S12_EEENS6_IJS15_S13_S12_S16_NSE_IJLi7ELi8EEEEEEENSE_IJLi5ELi6ELi7ELi8EEEElEENS_31BlockToCTileMap_M00_N0_M01AdaptILi128ELi128ENSL_INS6_IJSR_ST_ST_EEENS6_IJSZ_S10_S11_EEENS6_IJS15_S13_S12_EEENSE_IJLi3ELi4EEEElEEiEELb1ELi2EEEvPKT0_PKT1_T2_PT3_T4_T5_T6_T7_T8_T9_T10_T11_.numbered_sgpr, 23
	.set _ZN2ck51kernel_gemm_multiple_d_xdl_cshuffle_lds_direct_loadINS_48GridwiseGemmMultipleD_Xdl_CShuffle_LdsDirectLoadINS_13tensor_layout4gemm8RowMajorENS3_11ColumnMajorENS_5TupleIJEEES4_fffffS7_fNS_16tensor_operation12element_wise11PassThroughESA_SA_LNS_25InMemoryDataOperationEnumE0ELNS8_6device18GemmSpecializationE0ELi1ELi256ELi128ELi128ELi32ELi8ELi8ELi32ELi32ELi2ELi2ENS_8SequenceIJLi4ELi8ELi8EEEENSE_IJLi1ELi0ELi2EEEELi2ELi1ELi1ESF_SG_Li2ELi1ELi1ELi1ELi1ENSE_IJLi1ELi8ELi1ELi8EEEELi4ELNS_13LoopSchedulerE0ELNS_15PipelineVersionE2EfEEffS7_fSA_SA_SA_NS_16TensorDescriptorINS6_IJNS_5EmbedINS6_IJiiEEENS6_IJiNS_17integral_constantIiLi1EEEEEELb0EEENS_11PassThroughIiEEST_NS_7UnMergeINS6_IJiNSO_IiLi8EEEEEELb0EEEST_EEENS6_IJNSE_IJLi0EEEENSE_IJLi1EEEENSE_IJLi2EEEENSE_IJLi4EEEENSE_IJLi3EEEEEEENS6_IJNSE_IJLi1ELi2EEEES13_S12_NSE_IJLi5ELi6EEEENSE_IJLi7EEEEEEENSE_IJLi5ELi7ELi6EEEElEES1A_S7_NSL_INS6_IJSR_ST_ST_NSU_INS6_IJiNSO_IiLi128EEEEEELb0EEES1D_EEENS6_IJSZ_S10_S11_S13_S12_EEENS6_IJS15_S13_S12_S16_NSE_IJLi7ELi8EEEEEEENSE_IJLi5ELi6ELi7ELi8EEEElEENS_31BlockToCTileMap_M00_N0_M01AdaptILi128ELi128ENSL_INS6_IJSR_ST_ST_EEENS6_IJSZ_S10_S11_EEENS6_IJS15_S13_S12_EEENSE_IJLi3ELi4EEEElEEiEELb1ELi2EEEvPKT0_PKT1_T2_PT3_T4_T5_T6_T7_T8_T9_T10_T11_.num_named_barrier, 0
	.set _ZN2ck51kernel_gemm_multiple_d_xdl_cshuffle_lds_direct_loadINS_48GridwiseGemmMultipleD_Xdl_CShuffle_LdsDirectLoadINS_13tensor_layout4gemm8RowMajorENS3_11ColumnMajorENS_5TupleIJEEES4_fffffS7_fNS_16tensor_operation12element_wise11PassThroughESA_SA_LNS_25InMemoryDataOperationEnumE0ELNS8_6device18GemmSpecializationE0ELi1ELi256ELi128ELi128ELi32ELi8ELi8ELi32ELi32ELi2ELi2ENS_8SequenceIJLi4ELi8ELi8EEEENSE_IJLi1ELi0ELi2EEEELi2ELi1ELi1ESF_SG_Li2ELi1ELi1ELi1ELi1ENSE_IJLi1ELi8ELi1ELi8EEEELi4ELNS_13LoopSchedulerE0ELNS_15PipelineVersionE2EfEEffS7_fSA_SA_SA_NS_16TensorDescriptorINS6_IJNS_5EmbedINS6_IJiiEEENS6_IJiNS_17integral_constantIiLi1EEEEEELb0EEENS_11PassThroughIiEEST_NS_7UnMergeINS6_IJiNSO_IiLi8EEEEEELb0EEEST_EEENS6_IJNSE_IJLi0EEEENSE_IJLi1EEEENSE_IJLi2EEEENSE_IJLi4EEEENSE_IJLi3EEEEEEENS6_IJNSE_IJLi1ELi2EEEES13_S12_NSE_IJLi5ELi6EEEENSE_IJLi7EEEEEEENSE_IJLi5ELi7ELi6EEEElEES1A_S7_NSL_INS6_IJSR_ST_ST_NSU_INS6_IJiNSO_IiLi128EEEEEELb0EEES1D_EEENS6_IJSZ_S10_S11_S13_S12_EEENS6_IJS15_S13_S12_S16_NSE_IJLi7ELi8EEEEEEENSE_IJLi5ELi6ELi7ELi8EEEElEENS_31BlockToCTileMap_M00_N0_M01AdaptILi128ELi128ENSL_INS6_IJSR_ST_ST_EEENS6_IJSZ_S10_S11_EEENS6_IJS15_S13_S12_EEENSE_IJLi3ELi4EEEElEEiEELb1ELi2EEEvPKT0_PKT1_T2_PT3_T4_T5_T6_T7_T8_T9_T10_T11_.private_seg_size, 0
	.set _ZN2ck51kernel_gemm_multiple_d_xdl_cshuffle_lds_direct_loadINS_48GridwiseGemmMultipleD_Xdl_CShuffle_LdsDirectLoadINS_13tensor_layout4gemm8RowMajorENS3_11ColumnMajorENS_5TupleIJEEES4_fffffS7_fNS_16tensor_operation12element_wise11PassThroughESA_SA_LNS_25InMemoryDataOperationEnumE0ELNS8_6device18GemmSpecializationE0ELi1ELi256ELi128ELi128ELi32ELi8ELi8ELi32ELi32ELi2ELi2ENS_8SequenceIJLi4ELi8ELi8EEEENSE_IJLi1ELi0ELi2EEEELi2ELi1ELi1ESF_SG_Li2ELi1ELi1ELi1ELi1ENSE_IJLi1ELi8ELi1ELi8EEEELi4ELNS_13LoopSchedulerE0ELNS_15PipelineVersionE2EfEEffS7_fSA_SA_SA_NS_16TensorDescriptorINS6_IJNS_5EmbedINS6_IJiiEEENS6_IJiNS_17integral_constantIiLi1EEEEEELb0EEENS_11PassThroughIiEEST_NS_7UnMergeINS6_IJiNSO_IiLi8EEEEEELb0EEEST_EEENS6_IJNSE_IJLi0EEEENSE_IJLi1EEEENSE_IJLi2EEEENSE_IJLi4EEEENSE_IJLi3EEEEEEENS6_IJNSE_IJLi1ELi2EEEES13_S12_NSE_IJLi5ELi6EEEENSE_IJLi7EEEEEEENSE_IJLi5ELi7ELi6EEEElEES1A_S7_NSL_INS6_IJSR_ST_ST_NSU_INS6_IJiNSO_IiLi128EEEEEELb0EEES1D_EEENS6_IJSZ_S10_S11_S13_S12_EEENS6_IJS15_S13_S12_S16_NSE_IJLi7ELi8EEEEEEENSE_IJLi5ELi6ELi7ELi8EEEElEENS_31BlockToCTileMap_M00_N0_M01AdaptILi128ELi128ENSL_INS6_IJSR_ST_ST_EEENS6_IJSZ_S10_S11_EEENS6_IJS15_S13_S12_EEENSE_IJLi3ELi4EEEElEEiEELb1ELi2EEEvPKT0_PKT1_T2_PT3_T4_T5_T6_T7_T8_T9_T10_T11_.uses_vcc, 1
	.set _ZN2ck51kernel_gemm_multiple_d_xdl_cshuffle_lds_direct_loadINS_48GridwiseGemmMultipleD_Xdl_CShuffle_LdsDirectLoadINS_13tensor_layout4gemm8RowMajorENS3_11ColumnMajorENS_5TupleIJEEES4_fffffS7_fNS_16tensor_operation12element_wise11PassThroughESA_SA_LNS_25InMemoryDataOperationEnumE0ELNS8_6device18GemmSpecializationE0ELi1ELi256ELi128ELi128ELi32ELi8ELi8ELi32ELi32ELi2ELi2ENS_8SequenceIJLi4ELi8ELi8EEEENSE_IJLi1ELi0ELi2EEEELi2ELi1ELi1ESF_SG_Li2ELi1ELi1ELi1ELi1ENSE_IJLi1ELi8ELi1ELi8EEEELi4ELNS_13LoopSchedulerE0ELNS_15PipelineVersionE2EfEEffS7_fSA_SA_SA_NS_16TensorDescriptorINS6_IJNS_5EmbedINS6_IJiiEEENS6_IJiNS_17integral_constantIiLi1EEEEEELb0EEENS_11PassThroughIiEEST_NS_7UnMergeINS6_IJiNSO_IiLi8EEEEEELb0EEEST_EEENS6_IJNSE_IJLi0EEEENSE_IJLi1EEEENSE_IJLi2EEEENSE_IJLi4EEEENSE_IJLi3EEEEEEENS6_IJNSE_IJLi1ELi2EEEES13_S12_NSE_IJLi5ELi6EEEENSE_IJLi7EEEEEEENSE_IJLi5ELi7ELi6EEEElEES1A_S7_NSL_INS6_IJSR_ST_ST_NSU_INS6_IJiNSO_IiLi128EEEEEELb0EEES1D_EEENS6_IJSZ_S10_S11_S13_S12_EEENS6_IJS15_S13_S12_S16_NSE_IJLi7ELi8EEEEEEENSE_IJLi5ELi6ELi7ELi8EEEElEENS_31BlockToCTileMap_M00_N0_M01AdaptILi128ELi128ENSL_INS6_IJSR_ST_ST_EEENS6_IJSZ_S10_S11_EEENS6_IJS15_S13_S12_EEENSE_IJLi3ELi4EEEElEEiEELb1ELi2EEEvPKT0_PKT1_T2_PT3_T4_T5_T6_T7_T8_T9_T10_T11_.uses_flat_scratch, 0
	.set _ZN2ck51kernel_gemm_multiple_d_xdl_cshuffle_lds_direct_loadINS_48GridwiseGemmMultipleD_Xdl_CShuffle_LdsDirectLoadINS_13tensor_layout4gemm8RowMajorENS3_11ColumnMajorENS_5TupleIJEEES4_fffffS7_fNS_16tensor_operation12element_wise11PassThroughESA_SA_LNS_25InMemoryDataOperationEnumE0ELNS8_6device18GemmSpecializationE0ELi1ELi256ELi128ELi128ELi32ELi8ELi8ELi32ELi32ELi2ELi2ENS_8SequenceIJLi4ELi8ELi8EEEENSE_IJLi1ELi0ELi2EEEELi2ELi1ELi1ESF_SG_Li2ELi1ELi1ELi1ELi1ENSE_IJLi1ELi8ELi1ELi8EEEELi4ELNS_13LoopSchedulerE0ELNS_15PipelineVersionE2EfEEffS7_fSA_SA_SA_NS_16TensorDescriptorINS6_IJNS_5EmbedINS6_IJiiEEENS6_IJiNS_17integral_constantIiLi1EEEEEELb0EEENS_11PassThroughIiEEST_NS_7UnMergeINS6_IJiNSO_IiLi8EEEEEELb0EEEST_EEENS6_IJNSE_IJLi0EEEENSE_IJLi1EEEENSE_IJLi2EEEENSE_IJLi4EEEENSE_IJLi3EEEEEEENS6_IJNSE_IJLi1ELi2EEEES13_S12_NSE_IJLi5ELi6EEEENSE_IJLi7EEEEEEENSE_IJLi5ELi7ELi6EEEElEES1A_S7_NSL_INS6_IJSR_ST_ST_NSU_INS6_IJiNSO_IiLi128EEEEEELb0EEES1D_EEENS6_IJSZ_S10_S11_S13_S12_EEENS6_IJS15_S13_S12_S16_NSE_IJLi7ELi8EEEEEEENSE_IJLi5ELi6ELi7ELi8EEEElEENS_31BlockToCTileMap_M00_N0_M01AdaptILi128ELi128ENSL_INS6_IJSR_ST_ST_EEENS6_IJSZ_S10_S11_EEENS6_IJS15_S13_S12_EEENSE_IJLi3ELi4EEEElEEiEELb1ELi2EEEvPKT0_PKT1_T2_PT3_T4_T5_T6_T7_T8_T9_T10_T11_.has_dyn_sized_stack, 0
	.set _ZN2ck51kernel_gemm_multiple_d_xdl_cshuffle_lds_direct_loadINS_48GridwiseGemmMultipleD_Xdl_CShuffle_LdsDirectLoadINS_13tensor_layout4gemm8RowMajorENS3_11ColumnMajorENS_5TupleIJEEES4_fffffS7_fNS_16tensor_operation12element_wise11PassThroughESA_SA_LNS_25InMemoryDataOperationEnumE0ELNS8_6device18GemmSpecializationE0ELi1ELi256ELi128ELi128ELi32ELi8ELi8ELi32ELi32ELi2ELi2ENS_8SequenceIJLi4ELi8ELi8EEEENSE_IJLi1ELi0ELi2EEEELi2ELi1ELi1ESF_SG_Li2ELi1ELi1ELi1ELi1ENSE_IJLi1ELi8ELi1ELi8EEEELi4ELNS_13LoopSchedulerE0ELNS_15PipelineVersionE2EfEEffS7_fSA_SA_SA_NS_16TensorDescriptorINS6_IJNS_5EmbedINS6_IJiiEEENS6_IJiNS_17integral_constantIiLi1EEEEEELb0EEENS_11PassThroughIiEEST_NS_7UnMergeINS6_IJiNSO_IiLi8EEEEEELb0EEEST_EEENS6_IJNSE_IJLi0EEEENSE_IJLi1EEEENSE_IJLi2EEEENSE_IJLi4EEEENSE_IJLi3EEEEEEENS6_IJNSE_IJLi1ELi2EEEES13_S12_NSE_IJLi5ELi6EEEENSE_IJLi7EEEEEEENSE_IJLi5ELi7ELi6EEEElEES1A_S7_NSL_INS6_IJSR_ST_ST_NSU_INS6_IJiNSO_IiLi128EEEEEELb0EEES1D_EEENS6_IJSZ_S10_S11_S13_S12_EEENS6_IJS15_S13_S12_S16_NSE_IJLi7ELi8EEEEEEENSE_IJLi5ELi6ELi7ELi8EEEElEENS_31BlockToCTileMap_M00_N0_M01AdaptILi128ELi128ENSL_INS6_IJSR_ST_ST_EEENS6_IJSZ_S10_S11_EEENS6_IJS15_S13_S12_EEENSE_IJLi3ELi4EEEElEEiEELb1ELi2EEEvPKT0_PKT1_T2_PT3_T4_T5_T6_T7_T8_T9_T10_T11_.has_recursion, 0
	.set _ZN2ck51kernel_gemm_multiple_d_xdl_cshuffle_lds_direct_loadINS_48GridwiseGemmMultipleD_Xdl_CShuffle_LdsDirectLoadINS_13tensor_layout4gemm8RowMajorENS3_11ColumnMajorENS_5TupleIJEEES4_fffffS7_fNS_16tensor_operation12element_wise11PassThroughESA_SA_LNS_25InMemoryDataOperationEnumE0ELNS8_6device18GemmSpecializationE0ELi1ELi256ELi128ELi128ELi32ELi8ELi8ELi32ELi32ELi2ELi2ENS_8SequenceIJLi4ELi8ELi8EEEENSE_IJLi1ELi0ELi2EEEELi2ELi1ELi1ESF_SG_Li2ELi1ELi1ELi1ELi1ENSE_IJLi1ELi8ELi1ELi8EEEELi4ELNS_13LoopSchedulerE0ELNS_15PipelineVersionE2EfEEffS7_fSA_SA_SA_NS_16TensorDescriptorINS6_IJNS_5EmbedINS6_IJiiEEENS6_IJiNS_17integral_constantIiLi1EEEEEELb0EEENS_11PassThroughIiEEST_NS_7UnMergeINS6_IJiNSO_IiLi8EEEEEELb0EEEST_EEENS6_IJNSE_IJLi0EEEENSE_IJLi1EEEENSE_IJLi2EEEENSE_IJLi4EEEENSE_IJLi3EEEEEEENS6_IJNSE_IJLi1ELi2EEEES13_S12_NSE_IJLi5ELi6EEEENSE_IJLi7EEEEEEENSE_IJLi5ELi7ELi6EEEElEES1A_S7_NSL_INS6_IJSR_ST_ST_NSU_INS6_IJiNSO_IiLi128EEEEEELb0EEES1D_EEENS6_IJSZ_S10_S11_S13_S12_EEENS6_IJS15_S13_S12_S16_NSE_IJLi7ELi8EEEEEEENSE_IJLi5ELi6ELi7ELi8EEEElEENS_31BlockToCTileMap_M00_N0_M01AdaptILi128ELi128ENSL_INS6_IJSR_ST_ST_EEENS6_IJSZ_S10_S11_EEENS6_IJS15_S13_S12_EEENSE_IJLi3ELi4EEEElEEiEELb1ELi2EEEvPKT0_PKT1_T2_PT3_T4_T5_T6_T7_T8_T9_T10_T11_.has_indirect_call, 0
	.section	.AMDGPU.csdata,"",@progbits
; Kernel info:
; codeLenInByte = 6984
; TotalNumSgprs: 29
; NumVgprs: 124
; NumAgprs: 0
; TotalNumVgprs: 124
; ScratchSize: 0
; MemoryBound: 0
; FloatMode: 240
; IeeeMode: 1
; LDSByteSize: 32768 bytes/workgroup (compile time only)
; SGPRBlocks: 12
; VGPRBlocks: 15
; NumSGPRsForWavesPerEU: 102
; NumVGPRsForWavesPerEU: 124
; AccumOffset: 124
; Occupancy: 4
; WaveLimiterHint : 0
; COMPUTE_PGM_RSRC2:SCRATCH_EN: 0
; COMPUTE_PGM_RSRC2:USER_SGPR: 2
; COMPUTE_PGM_RSRC2:TRAP_HANDLER: 0
; COMPUTE_PGM_RSRC2:TGID_X_EN: 1
; COMPUTE_PGM_RSRC2:TGID_Y_EN: 0
; COMPUTE_PGM_RSRC2:TGID_Z_EN: 0
; COMPUTE_PGM_RSRC2:TIDIG_COMP_CNT: 0
; COMPUTE_PGM_RSRC3_GFX90A:ACCUM_OFFSET: 30
; COMPUTE_PGM_RSRC3_GFX90A:TG_SPLIT: 0
	.section	.text._ZN2ck51kernel_gemm_multiple_d_xdl_cshuffle_lds_direct_loadINS_48GridwiseGemmMultipleD_Xdl_CShuffle_LdsDirectLoadINS_13tensor_layout4gemm8RowMajorENS3_11ColumnMajorENS_5TupleIJEEES4_fffffS7_fNS_16tensor_operation12element_wise11PassThroughESA_SA_LNS_25InMemoryDataOperationEnumE0ELNS8_6device18GemmSpecializationE0ELi1ELi256ELi128ELi128ELi32ELi8ELi8ELi32ELi32ELi2ELi2ENS_8SequenceIJLi4ELi8ELi8EEEENSE_IJLi1ELi0ELi2EEEELi2ELi1ELi1ESF_SG_Li2ELi1ELi1ELi1ELi1ENSE_IJLi1ELi8ELi1ELi8EEEELi4ELNS_13LoopSchedulerE0ELNS_15PipelineVersionE2EfEEffS7_fSA_SA_SA_NS_16TensorDescriptorINS6_IJNS_5EmbedINS6_IJiiEEENS6_IJiNS_17integral_constantIiLi1EEEEEELb0EEENS_11PassThroughIiEEST_NS_7UnMergeINS6_IJiNSO_IiLi8EEEEEELb0EEEST_EEENS6_IJNSE_IJLi0EEEENSE_IJLi1EEEENSE_IJLi2EEEENSE_IJLi4EEEENSE_IJLi3EEEEEEENS6_IJNSE_IJLi1ELi2EEEES13_S12_NSE_IJLi5ELi6EEEENSE_IJLi7EEEEEEENSE_IJLi5ELi7ELi6EEEElEES1A_S7_NSL_INS6_IJSR_ST_ST_NSU_INS6_IJiNSO_IiLi128EEEEEELb0EEES1D_EEENS6_IJSZ_S10_S11_S13_S12_EEENS6_IJS15_S13_S12_S16_NSE_IJLi7ELi8EEEEEEENSE_IJLi5ELi6ELi7ELi8EEEElEENS_31BlockToCTileMap_M00_N0_M01AdaptILi128ELi128ENSL_INS6_IJSR_ST_ST_EEENS6_IJSZ_S10_S11_EEENS6_IJS15_S13_S12_EEENSE_IJLi3ELi4EEEElEEiEELb0ELi2EEEvPKT0_PKT1_T2_PT3_T4_T5_T6_T7_T8_T9_T10_T11_,"axG",@progbits,_ZN2ck51kernel_gemm_multiple_d_xdl_cshuffle_lds_direct_loadINS_48GridwiseGemmMultipleD_Xdl_CShuffle_LdsDirectLoadINS_13tensor_layout4gemm8RowMajorENS3_11ColumnMajorENS_5TupleIJEEES4_fffffS7_fNS_16tensor_operation12element_wise11PassThroughESA_SA_LNS_25InMemoryDataOperationEnumE0ELNS8_6device18GemmSpecializationE0ELi1ELi256ELi128ELi128ELi32ELi8ELi8ELi32ELi32ELi2ELi2ENS_8SequenceIJLi4ELi8ELi8EEEENSE_IJLi1ELi0ELi2EEEELi2ELi1ELi1ESF_SG_Li2ELi1ELi1ELi1ELi1ENSE_IJLi1ELi8ELi1ELi8EEEELi4ELNS_13LoopSchedulerE0ELNS_15PipelineVersionE2EfEEffS7_fSA_SA_SA_NS_16TensorDescriptorINS6_IJNS_5EmbedINS6_IJiiEEENS6_IJiNS_17integral_constantIiLi1EEEEEELb0EEENS_11PassThroughIiEEST_NS_7UnMergeINS6_IJiNSO_IiLi8EEEEEELb0EEEST_EEENS6_IJNSE_IJLi0EEEENSE_IJLi1EEEENSE_IJLi2EEEENSE_IJLi4EEEENSE_IJLi3EEEEEEENS6_IJNSE_IJLi1ELi2EEEES13_S12_NSE_IJLi5ELi6EEEENSE_IJLi7EEEEEEENSE_IJLi5ELi7ELi6EEEElEES1A_S7_NSL_INS6_IJSR_ST_ST_NSU_INS6_IJiNSO_IiLi128EEEEEELb0EEES1D_EEENS6_IJSZ_S10_S11_S13_S12_EEENS6_IJS15_S13_S12_S16_NSE_IJLi7ELi8EEEEEEENSE_IJLi5ELi6ELi7ELi8EEEElEENS_31BlockToCTileMap_M00_N0_M01AdaptILi128ELi128ENSL_INS6_IJSR_ST_ST_EEENS6_IJSZ_S10_S11_EEENS6_IJS15_S13_S12_EEENSE_IJLi3ELi4EEEElEEiEELb0ELi2EEEvPKT0_PKT1_T2_PT3_T4_T5_T6_T7_T8_T9_T10_T11_,comdat
	.protected	_ZN2ck51kernel_gemm_multiple_d_xdl_cshuffle_lds_direct_loadINS_48GridwiseGemmMultipleD_Xdl_CShuffle_LdsDirectLoadINS_13tensor_layout4gemm8RowMajorENS3_11ColumnMajorENS_5TupleIJEEES4_fffffS7_fNS_16tensor_operation12element_wise11PassThroughESA_SA_LNS_25InMemoryDataOperationEnumE0ELNS8_6device18GemmSpecializationE0ELi1ELi256ELi128ELi128ELi32ELi8ELi8ELi32ELi32ELi2ELi2ENS_8SequenceIJLi4ELi8ELi8EEEENSE_IJLi1ELi0ELi2EEEELi2ELi1ELi1ESF_SG_Li2ELi1ELi1ELi1ELi1ENSE_IJLi1ELi8ELi1ELi8EEEELi4ELNS_13LoopSchedulerE0ELNS_15PipelineVersionE2EfEEffS7_fSA_SA_SA_NS_16TensorDescriptorINS6_IJNS_5EmbedINS6_IJiiEEENS6_IJiNS_17integral_constantIiLi1EEEEEELb0EEENS_11PassThroughIiEEST_NS_7UnMergeINS6_IJiNSO_IiLi8EEEEEELb0EEEST_EEENS6_IJNSE_IJLi0EEEENSE_IJLi1EEEENSE_IJLi2EEEENSE_IJLi4EEEENSE_IJLi3EEEEEEENS6_IJNSE_IJLi1ELi2EEEES13_S12_NSE_IJLi5ELi6EEEENSE_IJLi7EEEEEEENSE_IJLi5ELi7ELi6EEEElEES1A_S7_NSL_INS6_IJSR_ST_ST_NSU_INS6_IJiNSO_IiLi128EEEEEELb0EEES1D_EEENS6_IJSZ_S10_S11_S13_S12_EEENS6_IJS15_S13_S12_S16_NSE_IJLi7ELi8EEEEEEENSE_IJLi5ELi6ELi7ELi8EEEElEENS_31BlockToCTileMap_M00_N0_M01AdaptILi128ELi128ENSL_INS6_IJSR_ST_ST_EEENS6_IJSZ_S10_S11_EEENS6_IJS15_S13_S12_EEENSE_IJLi3ELi4EEEElEEiEELb0ELi2EEEvPKT0_PKT1_T2_PT3_T4_T5_T6_T7_T8_T9_T10_T11_ ; -- Begin function _ZN2ck51kernel_gemm_multiple_d_xdl_cshuffle_lds_direct_loadINS_48GridwiseGemmMultipleD_Xdl_CShuffle_LdsDirectLoadINS_13tensor_layout4gemm8RowMajorENS3_11ColumnMajorENS_5TupleIJEEES4_fffffS7_fNS_16tensor_operation12element_wise11PassThroughESA_SA_LNS_25InMemoryDataOperationEnumE0ELNS8_6device18GemmSpecializationE0ELi1ELi256ELi128ELi128ELi32ELi8ELi8ELi32ELi32ELi2ELi2ENS_8SequenceIJLi4ELi8ELi8EEEENSE_IJLi1ELi0ELi2EEEELi2ELi1ELi1ESF_SG_Li2ELi1ELi1ELi1ELi1ENSE_IJLi1ELi8ELi1ELi8EEEELi4ELNS_13LoopSchedulerE0ELNS_15PipelineVersionE2EfEEffS7_fSA_SA_SA_NS_16TensorDescriptorINS6_IJNS_5EmbedINS6_IJiiEEENS6_IJiNS_17integral_constantIiLi1EEEEEELb0EEENS_11PassThroughIiEEST_NS_7UnMergeINS6_IJiNSO_IiLi8EEEEEELb0EEEST_EEENS6_IJNSE_IJLi0EEEENSE_IJLi1EEEENSE_IJLi2EEEENSE_IJLi4EEEENSE_IJLi3EEEEEEENS6_IJNSE_IJLi1ELi2EEEES13_S12_NSE_IJLi5ELi6EEEENSE_IJLi7EEEEEEENSE_IJLi5ELi7ELi6EEEElEES1A_S7_NSL_INS6_IJSR_ST_ST_NSU_INS6_IJiNSO_IiLi128EEEEEELb0EEES1D_EEENS6_IJSZ_S10_S11_S13_S12_EEENS6_IJS15_S13_S12_S16_NSE_IJLi7ELi8EEEEEEENSE_IJLi5ELi6ELi7ELi8EEEElEENS_31BlockToCTileMap_M00_N0_M01AdaptILi128ELi128ENSL_INS6_IJSR_ST_ST_EEENS6_IJSZ_S10_S11_EEENS6_IJS15_S13_S12_EEENSE_IJLi3ELi4EEEElEEiEELb0ELi2EEEvPKT0_PKT1_T2_PT3_T4_T5_T6_T7_T8_T9_T10_T11_
	.globl	_ZN2ck51kernel_gemm_multiple_d_xdl_cshuffle_lds_direct_loadINS_48GridwiseGemmMultipleD_Xdl_CShuffle_LdsDirectLoadINS_13tensor_layout4gemm8RowMajorENS3_11ColumnMajorENS_5TupleIJEEES4_fffffS7_fNS_16tensor_operation12element_wise11PassThroughESA_SA_LNS_25InMemoryDataOperationEnumE0ELNS8_6device18GemmSpecializationE0ELi1ELi256ELi128ELi128ELi32ELi8ELi8ELi32ELi32ELi2ELi2ENS_8SequenceIJLi4ELi8ELi8EEEENSE_IJLi1ELi0ELi2EEEELi2ELi1ELi1ESF_SG_Li2ELi1ELi1ELi1ELi1ENSE_IJLi1ELi8ELi1ELi8EEEELi4ELNS_13LoopSchedulerE0ELNS_15PipelineVersionE2EfEEffS7_fSA_SA_SA_NS_16TensorDescriptorINS6_IJNS_5EmbedINS6_IJiiEEENS6_IJiNS_17integral_constantIiLi1EEEEEELb0EEENS_11PassThroughIiEEST_NS_7UnMergeINS6_IJiNSO_IiLi8EEEEEELb0EEEST_EEENS6_IJNSE_IJLi0EEEENSE_IJLi1EEEENSE_IJLi2EEEENSE_IJLi4EEEENSE_IJLi3EEEEEEENS6_IJNSE_IJLi1ELi2EEEES13_S12_NSE_IJLi5ELi6EEEENSE_IJLi7EEEEEEENSE_IJLi5ELi7ELi6EEEElEES1A_S7_NSL_INS6_IJSR_ST_ST_NSU_INS6_IJiNSO_IiLi128EEEEEELb0EEES1D_EEENS6_IJSZ_S10_S11_S13_S12_EEENS6_IJS15_S13_S12_S16_NSE_IJLi7ELi8EEEEEEENSE_IJLi5ELi6ELi7ELi8EEEElEENS_31BlockToCTileMap_M00_N0_M01AdaptILi128ELi128ENSL_INS6_IJSR_ST_ST_EEENS6_IJSZ_S10_S11_EEENS6_IJS15_S13_S12_EEENSE_IJLi3ELi4EEEElEEiEELb0ELi2EEEvPKT0_PKT1_T2_PT3_T4_T5_T6_T7_T8_T9_T10_T11_
	.p2align	8
	.type	_ZN2ck51kernel_gemm_multiple_d_xdl_cshuffle_lds_direct_loadINS_48GridwiseGemmMultipleD_Xdl_CShuffle_LdsDirectLoadINS_13tensor_layout4gemm8RowMajorENS3_11ColumnMajorENS_5TupleIJEEES4_fffffS7_fNS_16tensor_operation12element_wise11PassThroughESA_SA_LNS_25InMemoryDataOperationEnumE0ELNS8_6device18GemmSpecializationE0ELi1ELi256ELi128ELi128ELi32ELi8ELi8ELi32ELi32ELi2ELi2ENS_8SequenceIJLi4ELi8ELi8EEEENSE_IJLi1ELi0ELi2EEEELi2ELi1ELi1ESF_SG_Li2ELi1ELi1ELi1ELi1ENSE_IJLi1ELi8ELi1ELi8EEEELi4ELNS_13LoopSchedulerE0ELNS_15PipelineVersionE2EfEEffS7_fSA_SA_SA_NS_16TensorDescriptorINS6_IJNS_5EmbedINS6_IJiiEEENS6_IJiNS_17integral_constantIiLi1EEEEEELb0EEENS_11PassThroughIiEEST_NS_7UnMergeINS6_IJiNSO_IiLi8EEEEEELb0EEEST_EEENS6_IJNSE_IJLi0EEEENSE_IJLi1EEEENSE_IJLi2EEEENSE_IJLi4EEEENSE_IJLi3EEEEEEENS6_IJNSE_IJLi1ELi2EEEES13_S12_NSE_IJLi5ELi6EEEENSE_IJLi7EEEEEEENSE_IJLi5ELi7ELi6EEEElEES1A_S7_NSL_INS6_IJSR_ST_ST_NSU_INS6_IJiNSO_IiLi128EEEEEELb0EEES1D_EEENS6_IJSZ_S10_S11_S13_S12_EEENS6_IJS15_S13_S12_S16_NSE_IJLi7ELi8EEEEEEENSE_IJLi5ELi6ELi7ELi8EEEElEENS_31BlockToCTileMap_M00_N0_M01AdaptILi128ELi128ENSL_INS6_IJSR_ST_ST_EEENS6_IJSZ_S10_S11_EEENS6_IJS15_S13_S12_EEENSE_IJLi3ELi4EEEElEEiEELb0ELi2EEEvPKT0_PKT1_T2_PT3_T4_T5_T6_T7_T8_T9_T10_T11_,@function
_ZN2ck51kernel_gemm_multiple_d_xdl_cshuffle_lds_direct_loadINS_48GridwiseGemmMultipleD_Xdl_CShuffle_LdsDirectLoadINS_13tensor_layout4gemm8RowMajorENS3_11ColumnMajorENS_5TupleIJEEES4_fffffS7_fNS_16tensor_operation12element_wise11PassThroughESA_SA_LNS_25InMemoryDataOperationEnumE0ELNS8_6device18GemmSpecializationE0ELi1ELi256ELi128ELi128ELi32ELi8ELi8ELi32ELi32ELi2ELi2ENS_8SequenceIJLi4ELi8ELi8EEEENSE_IJLi1ELi0ELi2EEEELi2ELi1ELi1ESF_SG_Li2ELi1ELi1ELi1ELi1ENSE_IJLi1ELi8ELi1ELi8EEEELi4ELNS_13LoopSchedulerE0ELNS_15PipelineVersionE2EfEEffS7_fSA_SA_SA_NS_16TensorDescriptorINS6_IJNS_5EmbedINS6_IJiiEEENS6_IJiNS_17integral_constantIiLi1EEEEEELb0EEENS_11PassThroughIiEEST_NS_7UnMergeINS6_IJiNSO_IiLi8EEEEEELb0EEEST_EEENS6_IJNSE_IJLi0EEEENSE_IJLi1EEEENSE_IJLi2EEEENSE_IJLi4EEEENSE_IJLi3EEEEEEENS6_IJNSE_IJLi1ELi2EEEES13_S12_NSE_IJLi5ELi6EEEENSE_IJLi7EEEEEEENSE_IJLi5ELi7ELi6EEEElEES1A_S7_NSL_INS6_IJSR_ST_ST_NSU_INS6_IJiNSO_IiLi128EEEEEELb0EEES1D_EEENS6_IJSZ_S10_S11_S13_S12_EEENS6_IJS15_S13_S12_S16_NSE_IJLi7ELi8EEEEEEENSE_IJLi5ELi6ELi7ELi8EEEElEENS_31BlockToCTileMap_M00_N0_M01AdaptILi128ELi128ENSL_INS6_IJSR_ST_ST_EEENS6_IJSZ_S10_S11_EEENS6_IJS15_S13_S12_EEENSE_IJLi3ELi4EEEElEEiEELb0ELi2EEEvPKT0_PKT1_T2_PT3_T4_T5_T6_T7_T8_T9_T10_T11_: ; @_ZN2ck51kernel_gemm_multiple_d_xdl_cshuffle_lds_direct_loadINS_48GridwiseGemmMultipleD_Xdl_CShuffle_LdsDirectLoadINS_13tensor_layout4gemm8RowMajorENS3_11ColumnMajorENS_5TupleIJEEES4_fffffS7_fNS_16tensor_operation12element_wise11PassThroughESA_SA_LNS_25InMemoryDataOperationEnumE0ELNS8_6device18GemmSpecializationE0ELi1ELi256ELi128ELi128ELi32ELi8ELi8ELi32ELi32ELi2ELi2ENS_8SequenceIJLi4ELi8ELi8EEEENSE_IJLi1ELi0ELi2EEEELi2ELi1ELi1ESF_SG_Li2ELi1ELi1ELi1ELi1ENSE_IJLi1ELi8ELi1ELi8EEEELi4ELNS_13LoopSchedulerE0ELNS_15PipelineVersionE2EfEEffS7_fSA_SA_SA_NS_16TensorDescriptorINS6_IJNS_5EmbedINS6_IJiiEEENS6_IJiNS_17integral_constantIiLi1EEEEEELb0EEENS_11PassThroughIiEEST_NS_7UnMergeINS6_IJiNSO_IiLi8EEEEEELb0EEEST_EEENS6_IJNSE_IJLi0EEEENSE_IJLi1EEEENSE_IJLi2EEEENSE_IJLi4EEEENSE_IJLi3EEEEEEENS6_IJNSE_IJLi1ELi2EEEES13_S12_NSE_IJLi5ELi6EEEENSE_IJLi7EEEEEEENSE_IJLi5ELi7ELi6EEEElEES1A_S7_NSL_INS6_IJSR_ST_ST_NSU_INS6_IJiNSO_IiLi128EEEEEELb0EEES1D_EEENS6_IJSZ_S10_S11_S13_S12_EEENS6_IJS15_S13_S12_S16_NSE_IJLi7ELi8EEEEEEENSE_IJLi5ELi6ELi7ELi8EEEElEENS_31BlockToCTileMap_M00_N0_M01AdaptILi128ELi128ENSL_INS6_IJSR_ST_ST_EEENS6_IJSZ_S10_S11_EEENS6_IJS15_S13_S12_EEENSE_IJLi3ELi4EEEElEEiEELb0ELi2EEEvPKT0_PKT1_T2_PT3_T4_T5_T6_T7_T8_T9_T10_T11_
; %bb.0:
	s_load_dwordx4 s[4:7], s[0:1], 0xd8
	s_ashr_i32 s8, s2, 31
	s_abs_i32 s2, s2
	s_load_dword s12, s[0:1], 0xe8
	v_and_b32_e32 v66, 31, v0
	s_waitcnt lgkmcnt(0)
	s_add_i32 s3, s7, 0x7f
	s_add_i32 s5, s6, 0x7f
	s_ashr_i32 s6, s5, 31
	s_ashr_i32 s7, s3, 31
	s_lshr_b32 s6, s6, 25
	s_lshr_b32 s7, s7, 25
	s_add_i32 s5, s5, s6
	s_add_i32 s3, s3, s7
	s_ashr_i32 s6, s5, 7
	s_ashr_i32 s3, s3, 7
	s_mul_i32 s7, s3, s6
	s_abs_i32 s7, s7
	v_cvt_f32_u32_e32 v1, s7
	s_sub_i32 s9, 0, s7
	v_lshlrev_b32_e32 v7, 6, v0
	v_and_b32_e32 v7, 0x1000, v7
	v_rcp_iflag_f32_e32 v1, v1
	v_lshlrev_b32_e32 v8, 7, v66
	v_cmp_gt_u32_e32 vcc, 64, v0
	v_mul_f32_e32 v1, 0x4f7ffffe, v1
	v_cvt_u32_f32_e32 v1, v1
	s_nop 0
	v_readfirstlane_b32 s10, v1
	s_mul_i32 s9, s9, s10
	s_mul_hi_u32 s9, s10, s9
	s_add_i32 s10, s10, s9
	s_mul_hi_u32 s9, s2, s10
	s_mul_i32 s9, s9, s7
	s_sub_i32 s2, s2, s9
	s_sub_i32 s9, s2, s7
	s_cmp_ge_u32 s2, s7
	s_cselect_b32 s2, s9, s2
	s_sub_i32 s9, s2, s7
	s_cmp_ge_u32 s2, s7
	s_cselect_b32 s2, s9, s2
	s_abs_i32 s7, s3
	v_cvt_f32_u32_e32 v1, s7
	s_xor_b32 s2, s2, s8
	s_sub_i32 s2, s2, s8
	s_xor_b32 s8, s2, s3
	v_rcp_iflag_f32_e32 v1, v1
	s_sub_i32 s9, 0, s7
	s_ashr_i32 s13, s8, 31
	s_abs_i32 s10, s2
	v_mul_f32_e32 v1, 0x4f7ffffe, v1
	v_cvt_u32_f32_e32 v1, v1
	s_nop 0
	v_readfirstlane_b32 s8, v1
	s_mul_i32 s9, s9, s8
	s_mul_hi_u32 s9, s8, s9
	s_add_i32 s8, s8, s9
	s_mul_hi_u32 s8, s10, s8
	s_mul_i32 s9, s8, s7
	s_sub_i32 s9, s10, s9
	s_add_i32 s11, s8, 1
	s_sub_i32 s10, s9, s7
	s_cmp_ge_u32 s9, s7
	s_cselect_b32 s8, s11, s8
	s_cselect_b32 s9, s10, s9
	s_add_i32 s10, s8, 1
	s_cmp_ge_u32 s9, s7
	s_cselect_b32 s7, s10, s8
	s_load_dwordx4 s[8:11], s[0:1], 0x0
	s_abs_i32 s14, s12
	v_cvt_f32_u32_e32 v1, s14
	s_sub_i32 s16, 0, s14
	s_abs_i32 s15, s6
	s_xor_b32 s7, s7, s13
	v_rcp_iflag_f32_e32 v1, v1
	s_ashr_i32 s5, s5, 31
	s_sub_i32 s7, s7, s13
	s_mul_i32 s13, s7, s3
	v_mul_f32_e32 v1, 0x4f7ffffe, v1
	v_cvt_u32_f32_e32 v1, v1
	s_nop 0
	v_readfirstlane_b32 s17, v1
	s_mul_i32 s16, s16, s17
	s_mul_hi_u32 s16, s17, s16
	s_add_i32 s17, s17, s16
	s_mul_hi_u32 s16, s15, s17
	s_mul_i32 s16, s16, s14
	s_sub_i32 s15, s15, s16
	s_sub_i32 s16, s15, s14
	s_cmp_ge_u32 s15, s14
	s_cselect_b32 s15, s16, s15
	s_sub_i32 s16, s15, s14
	s_cmp_ge_u32 s15, s14
	s_cselect_b32 s15, s16, s15
	s_xor_b32 s15, s15, s5
	s_sub_i32 s5, s15, s5
	s_sub_i32 s6, s6, s5
	s_cmp_lt_i32 s7, s6
	s_cselect_b32 s5, s12, s5
	s_abs_i32 s12, s7
	s_sub_i32 s2, s2, s13
	s_mul_hi_u32 s13, s12, s17
	s_mul_i32 s13, s13, s14
	s_sub_i32 s12, s12, s13
	s_ashr_i32 s6, s7, 31
	s_sub_i32 s13, s12, s14
	s_cmp_ge_u32 s12, s14
	s_cselect_b32 s12, s13, s12
	s_sub_i32 s13, s12, s14
	s_cmp_ge_u32 s12, s14
	s_cselect_b32 s12, s13, s12
	s_abs_i32 s13, s5
	v_cvt_f32_u32_e32 v1, s13
	s_xor_b32 s12, s12, s6
	s_sub_i32 s6, s12, s6
	s_sub_i32 s15, 0, s13
	v_rcp_iflag_f32_e32 v1, v1
	s_mul_i32 s3, s6, s3
	s_add_i32 s3, s3, s2
	s_abs_i32 s12, s3
	v_mul_f32_e32 v1, 0x4f7ffffe, v1
	v_cvt_u32_f32_e32 v1, v1
	s_xor_b32 s2, s3, s5
	s_ashr_i32 s2, s2, 31
	s_load_dword s16, s[0:1], 0x30
	s_load_dword s14, s[0:1], 0x58
	;; [unrolled: 1-line block ×4, first 2 shown]
	v_readfirstlane_b32 s19, v1
	s_mul_i32 s15, s15, s19
	s_mul_hi_u32 s15, s19, s15
	s_add_i32 s19, s19, s15
	s_mul_hi_u32 s15, s12, s19
	s_mul_i32 s19, s15, s13
	s_sub_i32 s12, s12, s19
	s_add_i32 s19, s15, 1
	s_sub_i32 s20, s12, s13
	s_cmp_ge_u32 s12, s13
	s_cselect_b32 s15, s19, s15
	s_cselect_b32 s12, s20, s12
	s_add_i32 s19, s15, 1
	s_cmp_ge_u32 s12, s13
	s_cselect_b32 s12, s19, s15
	s_xor_b32 s12, s12, s2
	s_sub_i32 s2, s12, s2
	s_mul_i32 s5, s2, s5
	s_sub_i32 s3, s3, s5
	s_sub_i32 s5, s7, s6
	s_add_i32 s3, s5, s3
	v_lshrrev_b32_e32 v1, 5, v0
	v_readfirstlane_b32 s5, v0
	v_lshl_or_b32 v2, s3, 7, v1
	v_lshl_or_b32 v1, s2, 7, v1
	s_and_b32 s5, s5, 0x3c0
	s_waitcnt lgkmcnt(0)
	v_mul_lo_u32 v4, v2, s16
	v_mad_u64_u32 v[2:3], s[6:7], v1, s17, v[66:67]
	s_lshl_b32 s5, s5, 2
	s_lshl_b32 s14, s14, 2
	s_mov_b32 s15, 0x20000
	s_mov_b32 s12, s8
	;; [unrolled: 1-line block ×3, first 2 shown]
	v_add_lshl_u32 v4, v4, v66, 2
	s_mov_b32 m0, s5
	s_lshl_b32 s6, s16, 5
	buffer_load_dword v4, s[12:15], 0 offen lds
	v_add_u32_e32 v4, s6, v4
	s_add_i32 m0, s5, 0x400
	v_lshrrev_b32_e32 v1, 2, v0
	buffer_load_dword v4, s[12:15], 0 offen lds
	v_add_u32_e32 v4, s6, v4
	s_add_i32 m0, s5, 0x800
	v_and_or_b32 v3, v1, 32, v66
	buffer_load_dword v4, s[12:15], 0 offen lds
	v_add_u32_e32 v4, s6, v4
	s_add_i32 m0, s5, 0xc00
	s_nop 0
	buffer_load_dword v4, s[12:15], 0 offen lds
	v_add_u32_e32 v4, s6, v4
	s_or_b32 m0, s5, 0x1000
	s_nop 0
	buffer_load_dword v4, s[12:15], 0 offen lds
	v_add_u32_e32 v4, s6, v4
	s_add_i32 m0, s5, 0x1400
	s_nop 0
	buffer_load_dword v4, s[12:15], 0 offen lds
	v_add_u32_e32 v4, s6, v4
	s_add_i32 m0, s5, 0x1800
	s_nop 0
	buffer_load_dword v4, s[12:15], 0 offen lds
	v_add_u32_e32 v4, s6, v4
	s_add_i32 m0, s5, 0x1c00
	s_nop 0
	buffer_load_dword v4, s[12:15], 0 offen lds
	v_add_u32_e32 v4, s6, v4
	s_or_b32 m0, s5, 0x2000
	s_nop 0
	buffer_load_dword v4, s[12:15], 0 offen lds
	v_add_u32_e32 v4, s6, v4
	s_add_i32 m0, s5, 0x2400
	s_nop 0
	buffer_load_dword v4, s[12:15], 0 offen lds
	v_add_u32_e32 v4, s6, v4
	s_add_i32 m0, s5, 0x2800
	s_nop 0
	buffer_load_dword v4, s[12:15], 0 offen lds
	v_add_u32_e32 v4, s6, v4
	s_add_i32 m0, s5, 0x2c00
	s_nop 0
	buffer_load_dword v4, s[12:15], 0 offen lds
	v_add_u32_e32 v4, s6, v4
	s_or_b32 m0, s5, 0x3000
	s_nop 0
	buffer_load_dword v4, s[12:15], 0 offen lds
	v_add_u32_e32 v4, s6, v4
	s_add_i32 m0, s5, 0x3400
	s_nop 0
	buffer_load_dword v4, s[12:15], 0 offen lds
	v_add_u32_e32 v4, s6, v4
	s_add_i32 m0, s5, 0x3800
	s_nop 0
	buffer_load_dword v4, s[12:15], 0 offen lds
	v_add_u32_e32 v4, s6, v4
	s_add_i32 m0, s5, 0x3c00
	s_lshl_b32 s6, s17, 3
	buffer_load_dword v4, s[12:15], 0 offen lds
	s_lshl_b32 s14, s18, 2
	s_mov_b32 s12, s10
	s_mov_b32 s13, s11
	v_lshlrev_b32_e32 v4, 2, v2
	s_or_b32 m0, s5, 0x4000
	v_add_u32_e32 v2, s6, v2
	buffer_load_dword v4, s[12:15], 0 offen lds
	v_lshlrev_b32_e32 v4, 2, v2
	s_add_i32 m0, s5, 0x4400
	v_add_u32_e32 v2, s6, v2
	buffer_load_dword v4, s[12:15], 0 offen lds
	v_lshlrev_b32_e32 v4, 2, v2
	s_add_i32 m0, s5, 0x4800
	v_add_u32_e32 v2, s6, v2
	buffer_load_dword v4, s[12:15], 0 offen lds
	v_lshlrev_b32_e32 v4, 2, v2
	s_add_i32 m0, s5, 0x4c00
	v_add_u32_e32 v2, s6, v2
	buffer_load_dword v4, s[12:15], 0 offen lds
	v_lshlrev_b32_e32 v4, 2, v2
	s_or_b32 m0, s5, 0x5000
	v_add_u32_e32 v2, s6, v2
	buffer_load_dword v4, s[12:15], 0 offen lds
	v_lshlrev_b32_e32 v4, 2, v2
	s_add_i32 m0, s5, 0x5400
	v_add_u32_e32 v2, s6, v2
	buffer_load_dword v4, s[12:15], 0 offen lds
	v_lshlrev_b32_e32 v4, 2, v2
	s_add_i32 m0, s5, 0x5800
	v_add_u32_e32 v2, s6, v2
	buffer_load_dword v4, s[12:15], 0 offen lds
	v_lshlrev_b32_e32 v4, 2, v2
	s_add_i32 m0, s5, 0x5c00
	v_add_u32_e32 v2, s6, v2
	buffer_load_dword v4, s[12:15], 0 offen lds
	;; [unrolled: 16-line block ×3, first 2 shown]
	v_lshlrev_b32_e32 v4, 2, v2
	s_or_b32 m0, s5, 0x7000
	v_add_u32_e32 v2, s6, v2
	buffer_load_dword v4, s[12:15], 0 offen lds
	v_lshlrev_b32_e32 v4, 2, v2
	s_add_i32 m0, s5, 0x7400
	v_add_u32_e32 v2, s6, v2
	buffer_load_dword v4, s[12:15], 0 offen lds
	v_lshlrev_b32_e32 v4, 2, v2
	s_add_i32 m0, s5, 0x7800
	v_add_lshl_u32 v2, v2, s6, 2
	buffer_load_dword v4, s[12:15], 0 offen lds
	s_add_i32 m0, s5, 0x7c00
	s_nop 0
	buffer_load_dword v2, s[12:15], 0 offen lds
	v_lshlrev_b32_e32 v2, 1, v0
	v_and_b32_e32 v6, 64, v2
	v_lshl_or_b32 v67, v3, 7, v6
	;;#ASMSTART
	    s_waitcnt vmcnt(0) 
     s_waitcnt lgkmcnt(0) 
     s_barrier     
	;;#ASMEND
	s_waitcnt vmcnt(0)
	ds_read_b128 v[2:5], v67
	ds_read_b128 v[72:75], v67 offset:8192
	v_or3_b32 v84, v7, v8, v6
	ds_read_b128 v[18:21], v84 offset:16384
	ds_read_b128 v[68:71], v84 offset:24576
	s_waitcnt lgkmcnt(1)
	v_mfma_f32_32x32x2_f32 v[50:65], v2, v18, 0
	s_waitcnt lgkmcnt(0)
	v_mfma_f32_32x32x2_f32 v[34:49], v2, v68, 0
	v_mfma_f32_32x32x2_f32 v[50:65], v3, v19, v[50:65]
	;; [unrolled: 1-line block ×15, first 2 shown]
	ds_read_b128 v[68:71], v67 offset:16
	ds_read_b128 v[72:75], v84 offset:16400
	ds_read_b128 v[76:79], v84 offset:24592
	s_waitcnt lgkmcnt(1)
	v_mfma_f32_32x32x2_f32 v[50:65], v68, v72, v[50:65]
	s_waitcnt lgkmcnt(0)
	v_mfma_f32_32x32x2_f32 v[34:49], v68, v76, v[34:49]
	v_mfma_f32_32x32x2_f32 v[50:65], v69, v73, v[50:65]
	;; [unrolled: 1-line block ×7, first 2 shown]
	ds_read_b128 v[68:71], v67 offset:8208
	s_waitcnt lgkmcnt(0)
	v_mfma_f32_32x32x2_f32 v[2:17], v68, v72, v[2:17]
	v_mfma_f32_32x32x2_f32 v[18:33], v68, v76, v[18:33]
	;; [unrolled: 1-line block ×8, first 2 shown]
	ds_read_b128 v[68:71], v67 offset:32
	ds_read_b128 v[72:75], v84 offset:16416
	;; [unrolled: 1-line block ×3, first 2 shown]
	s_waitcnt lgkmcnt(1)
	v_mfma_f32_32x32x2_f32 v[50:65], v68, v72, v[50:65]
	s_waitcnt lgkmcnt(0)
	v_mfma_f32_32x32x2_f32 v[34:49], v68, v76, v[34:49]
	v_mfma_f32_32x32x2_f32 v[50:65], v69, v73, v[50:65]
	;; [unrolled: 1-line block ×7, first 2 shown]
	ds_read_b128 v[68:71], v67 offset:48
	ds_read_b128 v[80:83], v84 offset:16432
	;; [unrolled: 1-line block ×3, first 2 shown]
	s_waitcnt lgkmcnt(1)
	v_mfma_f32_32x32x2_f32 v[50:65], v68, v80, v[50:65]
	s_waitcnt lgkmcnt(0)
	v_mfma_f32_32x32x2_f32 v[34:49], v68, v84, v[34:49]
	v_mfma_f32_32x32x2_f32 v[50:65], v69, v81, v[50:65]
	;; [unrolled: 1-line block ×7, first 2 shown]
	ds_read_b128 v[68:71], v67 offset:8224
	s_waitcnt lgkmcnt(0)
	v_mfma_f32_32x32x2_f32 v[2:17], v68, v72, v[2:17]
	v_mfma_f32_32x32x2_f32 v[18:33], v68, v76, v[18:33]
	v_mov_b32_e32 v68, 0
	v_mfma_f32_32x32x2_f32 v[2:17], v69, v73, v[2:17]
	v_mfma_f32_32x32x2_f32 v[18:33], v69, v77, v[18:33]
	;; [unrolled: 1-line block ×4, first 2 shown]
	v_lshrrev_b32_e32 v70, 1, v0
	v_mfma_f32_32x32x2_f32 v[2:17], v71, v75, v[2:17]
	ds_read_b128 v[72:75], v67 offset:8240
	s_load_dwordx2 s[8:9], s[0:1], 0x18
	s_load_dword s5, s[0:1], 0xa8
	v_mov_b32_e32 v67, 0
	v_mfma_f32_32x32x2_f32 v[18:33], v71, v79, v[18:33]
	s_waitcnt lgkmcnt(0)
	v_mfma_f32_32x32x2_f32 v[2:17], v72, v80, v[2:17]
	v_mfma_f32_32x32x2_f32 v[18:33], v72, v84, v[18:33]
	;; [unrolled: 1-line block ×8, first 2 shown]
	s_and_saveexec_b64 s[0:1], vcc
; %bb.1:
	v_lshlrev_b32_e32 v67, 3, v0
	v_and_b32_e32 v69, 56, v0
	v_and_b32_e32 v68, 56, v67
	v_lshl_or_b32 v67, v69, 6, v68
	v_lshl_or_b32 v68, s2, 7, v68
	;; [unrolled: 1-line block ×3, first 2 shown]
	v_mad_u64_u32 v[68:69], s[2:3], v69, s5, v[68:69]
; %bb.2:
	s_or_b64 exec, exec, s[0:1]
	v_lshrrev_b32_e32 v0, 3, v0
	v_and_b32_e32 v0, 4, v0
	v_and_b32_e32 v69, 32, v70
	v_and_or_b32 v0, v1, 32, v0
	v_lshlrev_b32_e32 v1, 2, v69
	v_lshlrev_b32_e32 v0, 8, v0
	;; [unrolled: 1-line block ×3, first 2 shown]
	v_or3_b32 v1, v1, v0, v66
	v_lshlrev_b32_e32 v0, 2, v67
	s_mul_i32 s10, s5, -7
	s_waitcnt lgkmcnt(0)
	s_barrier
	ds_write2st64_b32 v1, v50, v51 offset1:1
	ds_write2st64_b32 v1, v52, v53 offset0:2 offset1:3
	ds_write2st64_b32 v1, v56, v57 offset0:10 offset1:11
	;; [unrolled: 1-line block ×7, first 2 shown]
	s_waitcnt lgkmcnt(0)
	s_barrier
	s_and_saveexec_b64 s[6:7], vcc
	s_cbranch_execz .LBB2_4
; %bb.3:
	ds_read_b128 v[50:53], v0
	ds_read_b128 v[54:57], v0 offset:16
	s_lshl_b32 s2, s4, 2
	s_and_b32 s1, s9, 0xffff
	s_mov_b32 s3, 0x20000
	s_mov_b32 s0, s8
	v_lshlrev_b32_e32 v58, 2, v68
	s_waitcnt lgkmcnt(1)
	buffer_store_dwordx4 v[50:53], v58, s[0:3], 0 offen
	v_add_u32_e32 v58, 4, v68
	ds_read_b128 v[50:53], v0 offset:272
	v_lshlrev_b32_e32 v59, 2, v58
	s_waitcnt lgkmcnt(1)
	buffer_store_dwordx4 v[54:57], v59, s[0:3], 0 offen
	ds_read_b128 v[54:57], v0 offset:256
	v_add_lshl_u32 v58, v58, s5, 2
	s_waitcnt lgkmcnt(1)
	buffer_store_dwordx4 v[50:53], v58, s[0:3], 0 offen
	v_add_u32_e32 v58, s5, v68
	ds_read_b128 v[50:53], v0 offset:512
	v_lshlrev_b32_e32 v59, 2, v58
	s_waitcnt lgkmcnt(1)
	buffer_store_dwordx4 v[54:57], v59, s[0:3], 0 offen
	ds_read_b128 v[54:57], v0 offset:528
	v_add_u32_e32 v58, s5, v58
	v_lshlrev_b32_e32 v59, 2, v58
	s_waitcnt lgkmcnt(1)
	buffer_store_dwordx4 v[50:53], v59, s[0:3], 0 offen
	v_add_u32_e32 v59, 4, v58
	ds_read_b128 v[50:53], v0 offset:784
	v_lshlrev_b32_e32 v60, 2, v59
	s_waitcnt lgkmcnt(1)
	buffer_store_dwordx4 v[54:57], v60, s[0:3], 0 offen
	ds_read_b128 v[54:57], v0 offset:768
	v_add_lshl_u32 v59, v59, s5, 2
	s_waitcnt lgkmcnt(1)
	buffer_store_dwordx4 v[50:53], v59, s[0:3], 0 offen
	v_add_u32_e32 v58, s5, v58
	ds_read_b128 v[50:53], v0 offset:1024
	v_lshlrev_b32_e32 v59, 2, v58
	s_waitcnt lgkmcnt(1)
	buffer_store_dwordx4 v[54:57], v59, s[0:3], 0 offen
	ds_read_b128 v[54:57], v0 offset:1040
	v_add_u32_e32 v58, s5, v58
	;; [unrolled: 19-line block ×3, first 2 shown]
	v_lshlrev_b32_e32 v59, 2, v58
	s_waitcnt lgkmcnt(1)
	buffer_store_dwordx4 v[50:53], v59, s[0:3], 0 offen
	v_add_u32_e32 v59, 4, v58
	ds_read_b128 v[50:53], v0 offset:1808
	v_lshlrev_b32_e32 v60, 2, v59
	s_waitcnt lgkmcnt(1)
	buffer_store_dwordx4 v[54:57], v60, s[0:3], 0 offen
	ds_read_b128 v[54:57], v0 offset:1792
	v_add_lshl_u32 v59, v59, s5, 2
	s_waitcnt lgkmcnt(1)
	buffer_store_dwordx4 v[50:53], v59, s[0:3], 0 offen
	s_nop 1
	v_add_u32_e32 v50, s5, v58
	v_lshlrev_b32_e32 v51, 2, v50
	v_add3_u32 v68, s10, 64, v50
	s_waitcnt lgkmcnt(0)
	buffer_store_dwordx4 v[54:57], v51, s[0:3], 0 offen
.LBB2_4:
	s_or_b64 exec, exec, s[6:7]
	s_waitcnt lgkmcnt(0)
	s_barrier
	ds_write2st64_b32 v1, v34, v35 offset1:1
	ds_write2st64_b32 v1, v36, v37 offset0:2 offset1:3
	ds_write2st64_b32 v1, v40, v41 offset0:10 offset1:11
	;; [unrolled: 1-line block ×7, first 2 shown]
	s_waitcnt lgkmcnt(0)
	s_barrier
	s_and_saveexec_b64 s[6:7], vcc
	s_cbranch_execz .LBB2_6
; %bb.5:
	ds_read_b128 v[34:37], v0
	ds_read_b128 v[38:41], v0 offset:16
	s_lshl_b32 s2, s4, 2
	s_and_b32 s1, s9, 0xffff
	s_mov_b32 s3, 0x20000
	s_mov_b32 s0, s8
	v_lshlrev_b32_e32 v42, 2, v68
	s_waitcnt lgkmcnt(1)
	buffer_store_dwordx4 v[34:37], v42, s[0:3], 0 offen
	v_add_u32_e32 v42, 4, v68
	ds_read_b128 v[34:37], v0 offset:272
	v_lshlrev_b32_e32 v43, 2, v42
	s_waitcnt lgkmcnt(1)
	buffer_store_dwordx4 v[38:41], v43, s[0:3], 0 offen
	ds_read_b128 v[38:41], v0 offset:256
	v_add_lshl_u32 v42, v42, s5, 2
	s_waitcnt lgkmcnt(1)
	buffer_store_dwordx4 v[34:37], v42, s[0:3], 0 offen
	v_add_u32_e32 v42, s5, v68
	ds_read_b128 v[34:37], v0 offset:512
	v_lshlrev_b32_e32 v43, 2, v42
	s_waitcnt lgkmcnt(1)
	buffer_store_dwordx4 v[38:41], v43, s[0:3], 0 offen
	ds_read_b128 v[38:41], v0 offset:528
	v_add_u32_e32 v42, s5, v42
	v_lshlrev_b32_e32 v43, 2, v42
	s_waitcnt lgkmcnt(1)
	buffer_store_dwordx4 v[34:37], v43, s[0:3], 0 offen
	v_add_u32_e32 v43, 4, v42
	ds_read_b128 v[34:37], v0 offset:784
	v_lshlrev_b32_e32 v44, 2, v43
	s_waitcnt lgkmcnt(1)
	buffer_store_dwordx4 v[38:41], v44, s[0:3], 0 offen
	ds_read_b128 v[38:41], v0 offset:768
	v_add_lshl_u32 v43, v43, s5, 2
	s_waitcnt lgkmcnt(1)
	buffer_store_dwordx4 v[34:37], v43, s[0:3], 0 offen
	v_add_u32_e32 v42, s5, v42
	ds_read_b128 v[34:37], v0 offset:1024
	v_lshlrev_b32_e32 v43, 2, v42
	s_waitcnt lgkmcnt(1)
	buffer_store_dwordx4 v[38:41], v43, s[0:3], 0 offen
	ds_read_b128 v[38:41], v0 offset:1040
	v_add_u32_e32 v42, s5, v42
	;; [unrolled: 19-line block ×3, first 2 shown]
	v_lshlrev_b32_e32 v43, 2, v42
	s_waitcnt lgkmcnt(1)
	buffer_store_dwordx4 v[34:37], v43, s[0:3], 0 offen
	v_add_u32_e32 v43, 4, v42
	ds_read_b128 v[34:37], v0 offset:1808
	v_lshlrev_b32_e32 v44, 2, v43
	s_waitcnt lgkmcnt(1)
	buffer_store_dwordx4 v[38:41], v44, s[0:3], 0 offen
	ds_read_b128 v[38:41], v0 offset:1792
	v_add_lshl_u32 v43, v43, s5, 2
	s_waitcnt lgkmcnt(1)
	buffer_store_dwordx4 v[34:37], v43, s[0:3], 0 offen
	s_nop 1
	v_add_u32_e32 v34, s5, v42
	v_lshlrev_b32_e32 v35, 2, v34
	s_waitcnt lgkmcnt(0)
	buffer_store_dwordx4 v[38:41], v35, s[0:3], 0 offen
	v_mad_u64_u32 v[68:69], s[0:1], s5, 57, v[34:35]
.LBB2_6:
	s_or_b64 exec, exec, s[6:7]
	s_waitcnt lgkmcnt(0)
	s_barrier
	ds_write2st64_b32 v1, v18, v19 offset1:1
	ds_write2st64_b32 v1, v20, v21 offset0:2 offset1:3
	ds_write2st64_b32 v1, v24, v25 offset0:10 offset1:11
	;; [unrolled: 1-line block ×7, first 2 shown]
	s_waitcnt lgkmcnt(0)
	s_barrier
	s_and_saveexec_b64 s[6:7], vcc
	s_cbranch_execz .LBB2_8
; %bb.7:
	ds_read_b128 v[18:21], v0
	ds_read_b128 v[22:25], v0 offset:16
	s_lshl_b32 s2, s4, 2
	s_and_b32 s1, s9, 0xffff
	s_mov_b32 s3, 0x20000
	s_mov_b32 s0, s8
	v_lshlrev_b32_e32 v26, 2, v68
	s_waitcnt lgkmcnt(1)
	buffer_store_dwordx4 v[18:21], v26, s[0:3], 0 offen
	v_add_u32_e32 v26, 4, v68
	ds_read_b128 v[18:21], v0 offset:272
	v_lshlrev_b32_e32 v27, 2, v26
	s_waitcnt lgkmcnt(1)
	buffer_store_dwordx4 v[22:25], v27, s[0:3], 0 offen
	ds_read_b128 v[22:25], v0 offset:256
	v_add_lshl_u32 v26, v26, s5, 2
	s_waitcnt lgkmcnt(1)
	buffer_store_dwordx4 v[18:21], v26, s[0:3], 0 offen
	v_add_u32_e32 v26, s5, v68
	ds_read_b128 v[18:21], v0 offset:512
	v_lshlrev_b32_e32 v27, 2, v26
	s_waitcnt lgkmcnt(1)
	buffer_store_dwordx4 v[22:25], v27, s[0:3], 0 offen
	ds_read_b128 v[22:25], v0 offset:528
	v_add_u32_e32 v26, s5, v26
	v_lshlrev_b32_e32 v27, 2, v26
	s_waitcnt lgkmcnt(1)
	buffer_store_dwordx4 v[18:21], v27, s[0:3], 0 offen
	v_add_u32_e32 v27, 4, v26
	ds_read_b128 v[18:21], v0 offset:784
	v_lshlrev_b32_e32 v28, 2, v27
	s_waitcnt lgkmcnt(1)
	buffer_store_dwordx4 v[22:25], v28, s[0:3], 0 offen
	ds_read_b128 v[22:25], v0 offset:768
	v_add_lshl_u32 v27, v27, s5, 2
	s_waitcnt lgkmcnt(1)
	buffer_store_dwordx4 v[18:21], v27, s[0:3], 0 offen
	v_add_u32_e32 v26, s5, v26
	ds_read_b128 v[18:21], v0 offset:1024
	v_lshlrev_b32_e32 v27, 2, v26
	s_waitcnt lgkmcnt(1)
	buffer_store_dwordx4 v[22:25], v27, s[0:3], 0 offen
	ds_read_b128 v[22:25], v0 offset:1040
	v_add_u32_e32 v26, s5, v26
	;; [unrolled: 19-line block ×3, first 2 shown]
	v_lshlrev_b32_e32 v27, 2, v26
	s_waitcnt lgkmcnt(1)
	buffer_store_dwordx4 v[18:21], v27, s[0:3], 0 offen
	v_add_u32_e32 v27, 4, v26
	ds_read_b128 v[18:21], v0 offset:1808
	v_lshlrev_b32_e32 v28, 2, v27
	s_waitcnt lgkmcnt(1)
	buffer_store_dwordx4 v[22:25], v28, s[0:3], 0 offen
	ds_read_b128 v[22:25], v0 offset:1792
	v_add_lshl_u32 v27, v27, s5, 2
	s_waitcnt lgkmcnt(1)
	buffer_store_dwordx4 v[18:21], v27, s[0:3], 0 offen
	s_nop 1
	v_add_u32_e32 v18, s5, v26
	v_lshlrev_b32_e32 v19, 2, v18
	s_waitcnt lgkmcnt(0)
	buffer_store_dwordx4 v[22:25], v19, s[0:3], 0 offen
	s_sub_i32 s0, s10, 64
	v_add_u32_e32 v68, s0, v18
.LBB2_8:
	s_or_b64 exec, exec, s[6:7]
	s_waitcnt lgkmcnt(0)
	s_barrier
	ds_write2st64_b32 v1, v2, v3 offset1:1
	ds_write2st64_b32 v1, v4, v5 offset0:2 offset1:3
	ds_write2st64_b32 v1, v8, v9 offset0:10 offset1:11
	;; [unrolled: 1-line block ×7, first 2 shown]
	s_waitcnt lgkmcnt(0)
	s_barrier
	s_and_saveexec_b64 s[0:1], vcc
	s_cbranch_execz .LBB2_10
; %bb.9:
	ds_read_b128 v[2:5], v0
	ds_read_b128 v[6:9], v0 offset:16
	s_lshl_b32 s10, s4, 2
	s_and_b32 s9, s9, 0xffff
	s_mov_b32 s11, 0x20000
	v_lshlrev_b32_e32 v1, 2, v68
	s_waitcnt lgkmcnt(1)
	buffer_store_dwordx4 v[2:5], v1, s[8:11], 0 offen
	ds_read_b128 v[2:5], v0 offset:272
	v_add_u32_e32 v1, 4, v68
	v_lshlrev_b32_e32 v10, 2, v1
	s_waitcnt lgkmcnt(1)
	buffer_store_dwordx4 v[6:9], v10, s[8:11], 0 offen
	v_add_lshl_u32 v1, v1, s5, 2
	ds_read_b128 v[6:9], v0 offset:256
	s_waitcnt lgkmcnt(1)
	buffer_store_dwordx4 v[2:5], v1, s[8:11], 0 offen
	ds_read_b128 v[2:5], v0 offset:512
	v_add_u32_e32 v1, s5, v68
	v_lshlrev_b32_e32 v10, 2, v1
	v_add_u32_e32 v1, s5, v1
	s_waitcnt lgkmcnt(1)
	buffer_store_dwordx4 v[6:9], v10, s[8:11], 0 offen
	v_lshlrev_b32_e32 v10, 2, v1
	ds_read_b128 v[6:9], v0 offset:528
	s_waitcnt lgkmcnt(1)
	buffer_store_dwordx4 v[2:5], v10, s[8:11], 0 offen
	ds_read_b128 v[2:5], v0 offset:784
	v_add_u32_e32 v10, 4, v1
	v_lshlrev_b32_e32 v11, 2, v10
	s_waitcnt lgkmcnt(1)
	buffer_store_dwordx4 v[6:9], v11, s[8:11], 0 offen
	v_add_lshl_u32 v10, v10, s5, 2
	ds_read_b128 v[6:9], v0 offset:768
	s_waitcnt lgkmcnt(1)
	buffer_store_dwordx4 v[2:5], v10, s[8:11], 0 offen
	ds_read_b128 v[2:5], v0 offset:1024
	v_add_u32_e32 v1, s5, v1
	v_lshlrev_b32_e32 v10, 2, v1
	v_add_u32_e32 v1, s5, v1
	s_waitcnt lgkmcnt(1)
	buffer_store_dwordx4 v[6:9], v10, s[8:11], 0 offen
	v_lshlrev_b32_e32 v10, 2, v1
	ds_read_b128 v[6:9], v0 offset:1040
	;; [unrolled: 19-line block ×3, first 2 shown]
	s_waitcnt lgkmcnt(1)
	buffer_store_dwordx4 v[2:5], v10, s[8:11], 0 offen
	ds_read_b128 v[2:5], v0 offset:1808
	ds_read_b128 v[10:13], v0 offset:1792
	v_add_u32_e32 v14, 4, v1
	v_lshlrev_b32_e32 v15, 2, v14
	v_add_lshl_u32 v0, v14, s5, 2
	s_waitcnt lgkmcnt(2)
	buffer_store_dwordx4 v[6:9], v15, s[8:11], 0 offen
	s_waitcnt lgkmcnt(1)
	buffer_store_dwordx4 v[2:5], v0, s[8:11], 0 offen
	v_add_lshl_u32 v0, v1, s5, 2
	s_waitcnt lgkmcnt(0)
	buffer_store_dwordx4 v[10:13], v0, s[8:11], 0 offen
.LBB2_10:
	s_endpgm
	.section	.rodata,"a",@progbits
	.p2align	6, 0x0
	.amdhsa_kernel _ZN2ck51kernel_gemm_multiple_d_xdl_cshuffle_lds_direct_loadINS_48GridwiseGemmMultipleD_Xdl_CShuffle_LdsDirectLoadINS_13tensor_layout4gemm8RowMajorENS3_11ColumnMajorENS_5TupleIJEEES4_fffffS7_fNS_16tensor_operation12element_wise11PassThroughESA_SA_LNS_25InMemoryDataOperationEnumE0ELNS8_6device18GemmSpecializationE0ELi1ELi256ELi128ELi128ELi32ELi8ELi8ELi32ELi32ELi2ELi2ENS_8SequenceIJLi4ELi8ELi8EEEENSE_IJLi1ELi0ELi2EEEELi2ELi1ELi1ESF_SG_Li2ELi1ELi1ELi1ELi1ENSE_IJLi1ELi8ELi1ELi8EEEELi4ELNS_13LoopSchedulerE0ELNS_15PipelineVersionE2EfEEffS7_fSA_SA_SA_NS_16TensorDescriptorINS6_IJNS_5EmbedINS6_IJiiEEENS6_IJiNS_17integral_constantIiLi1EEEEEELb0EEENS_11PassThroughIiEEST_NS_7UnMergeINS6_IJiNSO_IiLi8EEEEEELb0EEEST_EEENS6_IJNSE_IJLi0EEEENSE_IJLi1EEEENSE_IJLi2EEEENSE_IJLi4EEEENSE_IJLi3EEEEEEENS6_IJNSE_IJLi1ELi2EEEES13_S12_NSE_IJLi5ELi6EEEENSE_IJLi7EEEEEEENSE_IJLi5ELi7ELi6EEEElEES1A_S7_NSL_INS6_IJSR_ST_ST_NSU_INS6_IJiNSO_IiLi128EEEEEELb0EEES1D_EEENS6_IJSZ_S10_S11_S13_S12_EEENS6_IJS15_S13_S12_S16_NSE_IJLi7ELi8EEEEEEENSE_IJLi5ELi6ELi7ELi8EEEElEENS_31BlockToCTileMap_M00_N0_M01AdaptILi128ELi128ENSL_INS6_IJSR_ST_ST_EEENS6_IJSZ_S10_S11_EEENS6_IJS15_S13_S12_EEENSE_IJLi3ELi4EEEElEEiEELb0ELi2EEEvPKT0_PKT1_T2_PT3_T4_T5_T6_T7_T8_T9_T10_T11_
		.amdhsa_group_segment_fixed_size 32768
		.amdhsa_private_segment_fixed_size 0
		.amdhsa_kernarg_size 236
		.amdhsa_user_sgpr_count 2
		.amdhsa_user_sgpr_dispatch_ptr 0
		.amdhsa_user_sgpr_queue_ptr 0
		.amdhsa_user_sgpr_kernarg_segment_ptr 1
		.amdhsa_user_sgpr_dispatch_id 0
		.amdhsa_user_sgpr_kernarg_preload_length 0
		.amdhsa_user_sgpr_kernarg_preload_offset 0
		.amdhsa_user_sgpr_private_segment_size 0
		.amdhsa_uses_dynamic_stack 0
		.amdhsa_enable_private_segment 0
		.amdhsa_system_sgpr_workgroup_id_x 1
		.amdhsa_system_sgpr_workgroup_id_y 0
		.amdhsa_system_sgpr_workgroup_id_z 0
		.amdhsa_system_sgpr_workgroup_info 0
		.amdhsa_system_vgpr_workitem_id 0
		.amdhsa_next_free_vgpr 88
		.amdhsa_next_free_sgpr 96
		.amdhsa_accum_offset 88
		.amdhsa_reserve_vcc 1
		.amdhsa_float_round_mode_32 0
		.amdhsa_float_round_mode_16_64 0
		.amdhsa_float_denorm_mode_32 3
		.amdhsa_float_denorm_mode_16_64 3
		.amdhsa_dx10_clamp 1
		.amdhsa_ieee_mode 1
		.amdhsa_fp16_overflow 0
		.amdhsa_tg_split 0
		.amdhsa_exception_fp_ieee_invalid_op 0
		.amdhsa_exception_fp_denorm_src 0
		.amdhsa_exception_fp_ieee_div_zero 0
		.amdhsa_exception_fp_ieee_overflow 0
		.amdhsa_exception_fp_ieee_underflow 0
		.amdhsa_exception_fp_ieee_inexact 0
		.amdhsa_exception_int_div_zero 0
	.end_amdhsa_kernel
	.section	.text._ZN2ck51kernel_gemm_multiple_d_xdl_cshuffle_lds_direct_loadINS_48GridwiseGemmMultipleD_Xdl_CShuffle_LdsDirectLoadINS_13tensor_layout4gemm8RowMajorENS3_11ColumnMajorENS_5TupleIJEEES4_fffffS7_fNS_16tensor_operation12element_wise11PassThroughESA_SA_LNS_25InMemoryDataOperationEnumE0ELNS8_6device18GemmSpecializationE0ELi1ELi256ELi128ELi128ELi32ELi8ELi8ELi32ELi32ELi2ELi2ENS_8SequenceIJLi4ELi8ELi8EEEENSE_IJLi1ELi0ELi2EEEELi2ELi1ELi1ESF_SG_Li2ELi1ELi1ELi1ELi1ENSE_IJLi1ELi8ELi1ELi8EEEELi4ELNS_13LoopSchedulerE0ELNS_15PipelineVersionE2EfEEffS7_fSA_SA_SA_NS_16TensorDescriptorINS6_IJNS_5EmbedINS6_IJiiEEENS6_IJiNS_17integral_constantIiLi1EEEEEELb0EEENS_11PassThroughIiEEST_NS_7UnMergeINS6_IJiNSO_IiLi8EEEEEELb0EEEST_EEENS6_IJNSE_IJLi0EEEENSE_IJLi1EEEENSE_IJLi2EEEENSE_IJLi4EEEENSE_IJLi3EEEEEEENS6_IJNSE_IJLi1ELi2EEEES13_S12_NSE_IJLi5ELi6EEEENSE_IJLi7EEEEEEENSE_IJLi5ELi7ELi6EEEElEES1A_S7_NSL_INS6_IJSR_ST_ST_NSU_INS6_IJiNSO_IiLi128EEEEEELb0EEES1D_EEENS6_IJSZ_S10_S11_S13_S12_EEENS6_IJS15_S13_S12_S16_NSE_IJLi7ELi8EEEEEEENSE_IJLi5ELi6ELi7ELi8EEEElEENS_31BlockToCTileMap_M00_N0_M01AdaptILi128ELi128ENSL_INS6_IJSR_ST_ST_EEENS6_IJSZ_S10_S11_EEENS6_IJS15_S13_S12_EEENSE_IJLi3ELi4EEEElEEiEELb0ELi2EEEvPKT0_PKT1_T2_PT3_T4_T5_T6_T7_T8_T9_T10_T11_,"axG",@progbits,_ZN2ck51kernel_gemm_multiple_d_xdl_cshuffle_lds_direct_loadINS_48GridwiseGemmMultipleD_Xdl_CShuffle_LdsDirectLoadINS_13tensor_layout4gemm8RowMajorENS3_11ColumnMajorENS_5TupleIJEEES4_fffffS7_fNS_16tensor_operation12element_wise11PassThroughESA_SA_LNS_25InMemoryDataOperationEnumE0ELNS8_6device18GemmSpecializationE0ELi1ELi256ELi128ELi128ELi32ELi8ELi8ELi32ELi32ELi2ELi2ENS_8SequenceIJLi4ELi8ELi8EEEENSE_IJLi1ELi0ELi2EEEELi2ELi1ELi1ESF_SG_Li2ELi1ELi1ELi1ELi1ENSE_IJLi1ELi8ELi1ELi8EEEELi4ELNS_13LoopSchedulerE0ELNS_15PipelineVersionE2EfEEffS7_fSA_SA_SA_NS_16TensorDescriptorINS6_IJNS_5EmbedINS6_IJiiEEENS6_IJiNS_17integral_constantIiLi1EEEEEELb0EEENS_11PassThroughIiEEST_NS_7UnMergeINS6_IJiNSO_IiLi8EEEEEELb0EEEST_EEENS6_IJNSE_IJLi0EEEENSE_IJLi1EEEENSE_IJLi2EEEENSE_IJLi4EEEENSE_IJLi3EEEEEEENS6_IJNSE_IJLi1ELi2EEEES13_S12_NSE_IJLi5ELi6EEEENSE_IJLi7EEEEEEENSE_IJLi5ELi7ELi6EEEElEES1A_S7_NSL_INS6_IJSR_ST_ST_NSU_INS6_IJiNSO_IiLi128EEEEEELb0EEES1D_EEENS6_IJSZ_S10_S11_S13_S12_EEENS6_IJS15_S13_S12_S16_NSE_IJLi7ELi8EEEEEEENSE_IJLi5ELi6ELi7ELi8EEEElEENS_31BlockToCTileMap_M00_N0_M01AdaptILi128ELi128ENSL_INS6_IJSR_ST_ST_EEENS6_IJSZ_S10_S11_EEENS6_IJS15_S13_S12_EEENSE_IJLi3ELi4EEEElEEiEELb0ELi2EEEvPKT0_PKT1_T2_PT3_T4_T5_T6_T7_T8_T9_T10_T11_,comdat
.Lfunc_end2:
	.size	_ZN2ck51kernel_gemm_multiple_d_xdl_cshuffle_lds_direct_loadINS_48GridwiseGemmMultipleD_Xdl_CShuffle_LdsDirectLoadINS_13tensor_layout4gemm8RowMajorENS3_11ColumnMajorENS_5TupleIJEEES4_fffffS7_fNS_16tensor_operation12element_wise11PassThroughESA_SA_LNS_25InMemoryDataOperationEnumE0ELNS8_6device18GemmSpecializationE0ELi1ELi256ELi128ELi128ELi32ELi8ELi8ELi32ELi32ELi2ELi2ENS_8SequenceIJLi4ELi8ELi8EEEENSE_IJLi1ELi0ELi2EEEELi2ELi1ELi1ESF_SG_Li2ELi1ELi1ELi1ELi1ENSE_IJLi1ELi8ELi1ELi8EEEELi4ELNS_13LoopSchedulerE0ELNS_15PipelineVersionE2EfEEffS7_fSA_SA_SA_NS_16TensorDescriptorINS6_IJNS_5EmbedINS6_IJiiEEENS6_IJiNS_17integral_constantIiLi1EEEEEELb0EEENS_11PassThroughIiEEST_NS_7UnMergeINS6_IJiNSO_IiLi8EEEEEELb0EEEST_EEENS6_IJNSE_IJLi0EEEENSE_IJLi1EEEENSE_IJLi2EEEENSE_IJLi4EEEENSE_IJLi3EEEEEEENS6_IJNSE_IJLi1ELi2EEEES13_S12_NSE_IJLi5ELi6EEEENSE_IJLi7EEEEEEENSE_IJLi5ELi7ELi6EEEElEES1A_S7_NSL_INS6_IJSR_ST_ST_NSU_INS6_IJiNSO_IiLi128EEEEEELb0EEES1D_EEENS6_IJSZ_S10_S11_S13_S12_EEENS6_IJS15_S13_S12_S16_NSE_IJLi7ELi8EEEEEEENSE_IJLi5ELi6ELi7ELi8EEEElEENS_31BlockToCTileMap_M00_N0_M01AdaptILi128ELi128ENSL_INS6_IJSR_ST_ST_EEENS6_IJSZ_S10_S11_EEENS6_IJS15_S13_S12_EEENSE_IJLi3ELi4EEEElEEiEELb0ELi2EEEvPKT0_PKT1_T2_PT3_T4_T5_T6_T7_T8_T9_T10_T11_, .Lfunc_end2-_ZN2ck51kernel_gemm_multiple_d_xdl_cshuffle_lds_direct_loadINS_48GridwiseGemmMultipleD_Xdl_CShuffle_LdsDirectLoadINS_13tensor_layout4gemm8RowMajorENS3_11ColumnMajorENS_5TupleIJEEES4_fffffS7_fNS_16tensor_operation12element_wise11PassThroughESA_SA_LNS_25InMemoryDataOperationEnumE0ELNS8_6device18GemmSpecializationE0ELi1ELi256ELi128ELi128ELi32ELi8ELi8ELi32ELi32ELi2ELi2ENS_8SequenceIJLi4ELi8ELi8EEEENSE_IJLi1ELi0ELi2EEEELi2ELi1ELi1ESF_SG_Li2ELi1ELi1ELi1ELi1ENSE_IJLi1ELi8ELi1ELi8EEEELi4ELNS_13LoopSchedulerE0ELNS_15PipelineVersionE2EfEEffS7_fSA_SA_SA_NS_16TensorDescriptorINS6_IJNS_5EmbedINS6_IJiiEEENS6_IJiNS_17integral_constantIiLi1EEEEEELb0EEENS_11PassThroughIiEEST_NS_7UnMergeINS6_IJiNSO_IiLi8EEEEEELb0EEEST_EEENS6_IJNSE_IJLi0EEEENSE_IJLi1EEEENSE_IJLi2EEEENSE_IJLi4EEEENSE_IJLi3EEEEEEENS6_IJNSE_IJLi1ELi2EEEES13_S12_NSE_IJLi5ELi6EEEENSE_IJLi7EEEEEEENSE_IJLi5ELi7ELi6EEEElEES1A_S7_NSL_INS6_IJSR_ST_ST_NSU_INS6_IJiNSO_IiLi128EEEEEELb0EEES1D_EEENS6_IJSZ_S10_S11_S13_S12_EEENS6_IJS15_S13_S12_S16_NSE_IJLi7ELi8EEEEEEENSE_IJLi5ELi6ELi7ELi8EEEElEENS_31BlockToCTileMap_M00_N0_M01AdaptILi128ELi128ENSL_INS6_IJSR_ST_ST_EEENS6_IJSZ_S10_S11_EEENS6_IJS15_S13_S12_EEENSE_IJLi3ELi4EEEElEEiEELb0ELi2EEEvPKT0_PKT1_T2_PT3_T4_T5_T6_T7_T8_T9_T10_T11_
                                        ; -- End function
	.set _ZN2ck51kernel_gemm_multiple_d_xdl_cshuffle_lds_direct_loadINS_48GridwiseGemmMultipleD_Xdl_CShuffle_LdsDirectLoadINS_13tensor_layout4gemm8RowMajorENS3_11ColumnMajorENS_5TupleIJEEES4_fffffS7_fNS_16tensor_operation12element_wise11PassThroughESA_SA_LNS_25InMemoryDataOperationEnumE0ELNS8_6device18GemmSpecializationE0ELi1ELi256ELi128ELi128ELi32ELi8ELi8ELi32ELi32ELi2ELi2ENS_8SequenceIJLi4ELi8ELi8EEEENSE_IJLi1ELi0ELi2EEEELi2ELi1ELi1ESF_SG_Li2ELi1ELi1ELi1ELi1ENSE_IJLi1ELi8ELi1ELi8EEEELi4ELNS_13LoopSchedulerE0ELNS_15PipelineVersionE2EfEEffS7_fSA_SA_SA_NS_16TensorDescriptorINS6_IJNS_5EmbedINS6_IJiiEEENS6_IJiNS_17integral_constantIiLi1EEEEEELb0EEENS_11PassThroughIiEEST_NS_7UnMergeINS6_IJiNSO_IiLi8EEEEEELb0EEEST_EEENS6_IJNSE_IJLi0EEEENSE_IJLi1EEEENSE_IJLi2EEEENSE_IJLi4EEEENSE_IJLi3EEEEEEENS6_IJNSE_IJLi1ELi2EEEES13_S12_NSE_IJLi5ELi6EEEENSE_IJLi7EEEEEEENSE_IJLi5ELi7ELi6EEEElEES1A_S7_NSL_INS6_IJSR_ST_ST_NSU_INS6_IJiNSO_IiLi128EEEEEELb0EEES1D_EEENS6_IJSZ_S10_S11_S13_S12_EEENS6_IJS15_S13_S12_S16_NSE_IJLi7ELi8EEEEEEENSE_IJLi5ELi6ELi7ELi8EEEElEENS_31BlockToCTileMap_M00_N0_M01AdaptILi128ELi128ENSL_INS6_IJSR_ST_ST_EEENS6_IJSZ_S10_S11_EEENS6_IJS15_S13_S12_EEENSE_IJLi3ELi4EEEElEEiEELb0ELi2EEEvPKT0_PKT1_T2_PT3_T4_T5_T6_T7_T8_T9_T10_T11_.num_vgpr, 88
	.set _ZN2ck51kernel_gemm_multiple_d_xdl_cshuffle_lds_direct_loadINS_48GridwiseGemmMultipleD_Xdl_CShuffle_LdsDirectLoadINS_13tensor_layout4gemm8RowMajorENS3_11ColumnMajorENS_5TupleIJEEES4_fffffS7_fNS_16tensor_operation12element_wise11PassThroughESA_SA_LNS_25InMemoryDataOperationEnumE0ELNS8_6device18GemmSpecializationE0ELi1ELi256ELi128ELi128ELi32ELi8ELi8ELi32ELi32ELi2ELi2ENS_8SequenceIJLi4ELi8ELi8EEEENSE_IJLi1ELi0ELi2EEEELi2ELi1ELi1ESF_SG_Li2ELi1ELi1ELi1ELi1ENSE_IJLi1ELi8ELi1ELi8EEEELi4ELNS_13LoopSchedulerE0ELNS_15PipelineVersionE2EfEEffS7_fSA_SA_SA_NS_16TensorDescriptorINS6_IJNS_5EmbedINS6_IJiiEEENS6_IJiNS_17integral_constantIiLi1EEEEEELb0EEENS_11PassThroughIiEEST_NS_7UnMergeINS6_IJiNSO_IiLi8EEEEEELb0EEEST_EEENS6_IJNSE_IJLi0EEEENSE_IJLi1EEEENSE_IJLi2EEEENSE_IJLi4EEEENSE_IJLi3EEEEEEENS6_IJNSE_IJLi1ELi2EEEES13_S12_NSE_IJLi5ELi6EEEENSE_IJLi7EEEEEEENSE_IJLi5ELi7ELi6EEEElEES1A_S7_NSL_INS6_IJSR_ST_ST_NSU_INS6_IJiNSO_IiLi128EEEEEELb0EEES1D_EEENS6_IJSZ_S10_S11_S13_S12_EEENS6_IJS15_S13_S12_S16_NSE_IJLi7ELi8EEEEEEENSE_IJLi5ELi6ELi7ELi8EEEElEENS_31BlockToCTileMap_M00_N0_M01AdaptILi128ELi128ENSL_INS6_IJSR_ST_ST_EEENS6_IJSZ_S10_S11_EEENS6_IJS15_S13_S12_EEENSE_IJLi3ELi4EEEElEEiEELb0ELi2EEEvPKT0_PKT1_T2_PT3_T4_T5_T6_T7_T8_T9_T10_T11_.num_agpr, 0
	.set _ZN2ck51kernel_gemm_multiple_d_xdl_cshuffle_lds_direct_loadINS_48GridwiseGemmMultipleD_Xdl_CShuffle_LdsDirectLoadINS_13tensor_layout4gemm8RowMajorENS3_11ColumnMajorENS_5TupleIJEEES4_fffffS7_fNS_16tensor_operation12element_wise11PassThroughESA_SA_LNS_25InMemoryDataOperationEnumE0ELNS8_6device18GemmSpecializationE0ELi1ELi256ELi128ELi128ELi32ELi8ELi8ELi32ELi32ELi2ELi2ENS_8SequenceIJLi4ELi8ELi8EEEENSE_IJLi1ELi0ELi2EEEELi2ELi1ELi1ESF_SG_Li2ELi1ELi1ELi1ELi1ENSE_IJLi1ELi8ELi1ELi8EEEELi4ELNS_13LoopSchedulerE0ELNS_15PipelineVersionE2EfEEffS7_fSA_SA_SA_NS_16TensorDescriptorINS6_IJNS_5EmbedINS6_IJiiEEENS6_IJiNS_17integral_constantIiLi1EEEEEELb0EEENS_11PassThroughIiEEST_NS_7UnMergeINS6_IJiNSO_IiLi8EEEEEELb0EEEST_EEENS6_IJNSE_IJLi0EEEENSE_IJLi1EEEENSE_IJLi2EEEENSE_IJLi4EEEENSE_IJLi3EEEEEEENS6_IJNSE_IJLi1ELi2EEEES13_S12_NSE_IJLi5ELi6EEEENSE_IJLi7EEEEEEENSE_IJLi5ELi7ELi6EEEElEES1A_S7_NSL_INS6_IJSR_ST_ST_NSU_INS6_IJiNSO_IiLi128EEEEEELb0EEES1D_EEENS6_IJSZ_S10_S11_S13_S12_EEENS6_IJS15_S13_S12_S16_NSE_IJLi7ELi8EEEEEEENSE_IJLi5ELi6ELi7ELi8EEEElEENS_31BlockToCTileMap_M00_N0_M01AdaptILi128ELi128ENSL_INS6_IJSR_ST_ST_EEENS6_IJSZ_S10_S11_EEENS6_IJS15_S13_S12_EEENSE_IJLi3ELi4EEEElEEiEELb0ELi2EEEvPKT0_PKT1_T2_PT3_T4_T5_T6_T7_T8_T9_T10_T11_.numbered_sgpr, 21
	.set _ZN2ck51kernel_gemm_multiple_d_xdl_cshuffle_lds_direct_loadINS_48GridwiseGemmMultipleD_Xdl_CShuffle_LdsDirectLoadINS_13tensor_layout4gemm8RowMajorENS3_11ColumnMajorENS_5TupleIJEEES4_fffffS7_fNS_16tensor_operation12element_wise11PassThroughESA_SA_LNS_25InMemoryDataOperationEnumE0ELNS8_6device18GemmSpecializationE0ELi1ELi256ELi128ELi128ELi32ELi8ELi8ELi32ELi32ELi2ELi2ENS_8SequenceIJLi4ELi8ELi8EEEENSE_IJLi1ELi0ELi2EEEELi2ELi1ELi1ESF_SG_Li2ELi1ELi1ELi1ELi1ENSE_IJLi1ELi8ELi1ELi8EEEELi4ELNS_13LoopSchedulerE0ELNS_15PipelineVersionE2EfEEffS7_fSA_SA_SA_NS_16TensorDescriptorINS6_IJNS_5EmbedINS6_IJiiEEENS6_IJiNS_17integral_constantIiLi1EEEEEELb0EEENS_11PassThroughIiEEST_NS_7UnMergeINS6_IJiNSO_IiLi8EEEEEELb0EEEST_EEENS6_IJNSE_IJLi0EEEENSE_IJLi1EEEENSE_IJLi2EEEENSE_IJLi4EEEENSE_IJLi3EEEEEEENS6_IJNSE_IJLi1ELi2EEEES13_S12_NSE_IJLi5ELi6EEEENSE_IJLi7EEEEEEENSE_IJLi5ELi7ELi6EEEElEES1A_S7_NSL_INS6_IJSR_ST_ST_NSU_INS6_IJiNSO_IiLi128EEEEEELb0EEES1D_EEENS6_IJSZ_S10_S11_S13_S12_EEENS6_IJS15_S13_S12_S16_NSE_IJLi7ELi8EEEEEEENSE_IJLi5ELi6ELi7ELi8EEEElEENS_31BlockToCTileMap_M00_N0_M01AdaptILi128ELi128ENSL_INS6_IJSR_ST_ST_EEENS6_IJSZ_S10_S11_EEENS6_IJS15_S13_S12_EEENSE_IJLi3ELi4EEEElEEiEELb0ELi2EEEvPKT0_PKT1_T2_PT3_T4_T5_T6_T7_T8_T9_T10_T11_.num_named_barrier, 0
	.set _ZN2ck51kernel_gemm_multiple_d_xdl_cshuffle_lds_direct_loadINS_48GridwiseGemmMultipleD_Xdl_CShuffle_LdsDirectLoadINS_13tensor_layout4gemm8RowMajorENS3_11ColumnMajorENS_5TupleIJEEES4_fffffS7_fNS_16tensor_operation12element_wise11PassThroughESA_SA_LNS_25InMemoryDataOperationEnumE0ELNS8_6device18GemmSpecializationE0ELi1ELi256ELi128ELi128ELi32ELi8ELi8ELi32ELi32ELi2ELi2ENS_8SequenceIJLi4ELi8ELi8EEEENSE_IJLi1ELi0ELi2EEEELi2ELi1ELi1ESF_SG_Li2ELi1ELi1ELi1ELi1ENSE_IJLi1ELi8ELi1ELi8EEEELi4ELNS_13LoopSchedulerE0ELNS_15PipelineVersionE2EfEEffS7_fSA_SA_SA_NS_16TensorDescriptorINS6_IJNS_5EmbedINS6_IJiiEEENS6_IJiNS_17integral_constantIiLi1EEEEEELb0EEENS_11PassThroughIiEEST_NS_7UnMergeINS6_IJiNSO_IiLi8EEEEEELb0EEEST_EEENS6_IJNSE_IJLi0EEEENSE_IJLi1EEEENSE_IJLi2EEEENSE_IJLi4EEEENSE_IJLi3EEEEEEENS6_IJNSE_IJLi1ELi2EEEES13_S12_NSE_IJLi5ELi6EEEENSE_IJLi7EEEEEEENSE_IJLi5ELi7ELi6EEEElEES1A_S7_NSL_INS6_IJSR_ST_ST_NSU_INS6_IJiNSO_IiLi128EEEEEELb0EEES1D_EEENS6_IJSZ_S10_S11_S13_S12_EEENS6_IJS15_S13_S12_S16_NSE_IJLi7ELi8EEEEEEENSE_IJLi5ELi6ELi7ELi8EEEElEENS_31BlockToCTileMap_M00_N0_M01AdaptILi128ELi128ENSL_INS6_IJSR_ST_ST_EEENS6_IJSZ_S10_S11_EEENS6_IJS15_S13_S12_EEENSE_IJLi3ELi4EEEElEEiEELb0ELi2EEEvPKT0_PKT1_T2_PT3_T4_T5_T6_T7_T8_T9_T10_T11_.private_seg_size, 0
	.set _ZN2ck51kernel_gemm_multiple_d_xdl_cshuffle_lds_direct_loadINS_48GridwiseGemmMultipleD_Xdl_CShuffle_LdsDirectLoadINS_13tensor_layout4gemm8RowMajorENS3_11ColumnMajorENS_5TupleIJEEES4_fffffS7_fNS_16tensor_operation12element_wise11PassThroughESA_SA_LNS_25InMemoryDataOperationEnumE0ELNS8_6device18GemmSpecializationE0ELi1ELi256ELi128ELi128ELi32ELi8ELi8ELi32ELi32ELi2ELi2ENS_8SequenceIJLi4ELi8ELi8EEEENSE_IJLi1ELi0ELi2EEEELi2ELi1ELi1ESF_SG_Li2ELi1ELi1ELi1ELi1ENSE_IJLi1ELi8ELi1ELi8EEEELi4ELNS_13LoopSchedulerE0ELNS_15PipelineVersionE2EfEEffS7_fSA_SA_SA_NS_16TensorDescriptorINS6_IJNS_5EmbedINS6_IJiiEEENS6_IJiNS_17integral_constantIiLi1EEEEEELb0EEENS_11PassThroughIiEEST_NS_7UnMergeINS6_IJiNSO_IiLi8EEEEEELb0EEEST_EEENS6_IJNSE_IJLi0EEEENSE_IJLi1EEEENSE_IJLi2EEEENSE_IJLi4EEEENSE_IJLi3EEEEEEENS6_IJNSE_IJLi1ELi2EEEES13_S12_NSE_IJLi5ELi6EEEENSE_IJLi7EEEEEEENSE_IJLi5ELi7ELi6EEEElEES1A_S7_NSL_INS6_IJSR_ST_ST_NSU_INS6_IJiNSO_IiLi128EEEEEELb0EEES1D_EEENS6_IJSZ_S10_S11_S13_S12_EEENS6_IJS15_S13_S12_S16_NSE_IJLi7ELi8EEEEEEENSE_IJLi5ELi6ELi7ELi8EEEElEENS_31BlockToCTileMap_M00_N0_M01AdaptILi128ELi128ENSL_INS6_IJSR_ST_ST_EEENS6_IJSZ_S10_S11_EEENS6_IJS15_S13_S12_EEENSE_IJLi3ELi4EEEElEEiEELb0ELi2EEEvPKT0_PKT1_T2_PT3_T4_T5_T6_T7_T8_T9_T10_T11_.uses_vcc, 1
	.set _ZN2ck51kernel_gemm_multiple_d_xdl_cshuffle_lds_direct_loadINS_48GridwiseGemmMultipleD_Xdl_CShuffle_LdsDirectLoadINS_13tensor_layout4gemm8RowMajorENS3_11ColumnMajorENS_5TupleIJEEES4_fffffS7_fNS_16tensor_operation12element_wise11PassThroughESA_SA_LNS_25InMemoryDataOperationEnumE0ELNS8_6device18GemmSpecializationE0ELi1ELi256ELi128ELi128ELi32ELi8ELi8ELi32ELi32ELi2ELi2ENS_8SequenceIJLi4ELi8ELi8EEEENSE_IJLi1ELi0ELi2EEEELi2ELi1ELi1ESF_SG_Li2ELi1ELi1ELi1ELi1ENSE_IJLi1ELi8ELi1ELi8EEEELi4ELNS_13LoopSchedulerE0ELNS_15PipelineVersionE2EfEEffS7_fSA_SA_SA_NS_16TensorDescriptorINS6_IJNS_5EmbedINS6_IJiiEEENS6_IJiNS_17integral_constantIiLi1EEEEEELb0EEENS_11PassThroughIiEEST_NS_7UnMergeINS6_IJiNSO_IiLi8EEEEEELb0EEEST_EEENS6_IJNSE_IJLi0EEEENSE_IJLi1EEEENSE_IJLi2EEEENSE_IJLi4EEEENSE_IJLi3EEEEEEENS6_IJNSE_IJLi1ELi2EEEES13_S12_NSE_IJLi5ELi6EEEENSE_IJLi7EEEEEEENSE_IJLi5ELi7ELi6EEEElEES1A_S7_NSL_INS6_IJSR_ST_ST_NSU_INS6_IJiNSO_IiLi128EEEEEELb0EEES1D_EEENS6_IJSZ_S10_S11_S13_S12_EEENS6_IJS15_S13_S12_S16_NSE_IJLi7ELi8EEEEEEENSE_IJLi5ELi6ELi7ELi8EEEElEENS_31BlockToCTileMap_M00_N0_M01AdaptILi128ELi128ENSL_INS6_IJSR_ST_ST_EEENS6_IJSZ_S10_S11_EEENS6_IJS15_S13_S12_EEENSE_IJLi3ELi4EEEElEEiEELb0ELi2EEEvPKT0_PKT1_T2_PT3_T4_T5_T6_T7_T8_T9_T10_T11_.uses_flat_scratch, 0
	.set _ZN2ck51kernel_gemm_multiple_d_xdl_cshuffle_lds_direct_loadINS_48GridwiseGemmMultipleD_Xdl_CShuffle_LdsDirectLoadINS_13tensor_layout4gemm8RowMajorENS3_11ColumnMajorENS_5TupleIJEEES4_fffffS7_fNS_16tensor_operation12element_wise11PassThroughESA_SA_LNS_25InMemoryDataOperationEnumE0ELNS8_6device18GemmSpecializationE0ELi1ELi256ELi128ELi128ELi32ELi8ELi8ELi32ELi32ELi2ELi2ENS_8SequenceIJLi4ELi8ELi8EEEENSE_IJLi1ELi0ELi2EEEELi2ELi1ELi1ESF_SG_Li2ELi1ELi1ELi1ELi1ENSE_IJLi1ELi8ELi1ELi8EEEELi4ELNS_13LoopSchedulerE0ELNS_15PipelineVersionE2EfEEffS7_fSA_SA_SA_NS_16TensorDescriptorINS6_IJNS_5EmbedINS6_IJiiEEENS6_IJiNS_17integral_constantIiLi1EEEEEELb0EEENS_11PassThroughIiEEST_NS_7UnMergeINS6_IJiNSO_IiLi8EEEEEELb0EEEST_EEENS6_IJNSE_IJLi0EEEENSE_IJLi1EEEENSE_IJLi2EEEENSE_IJLi4EEEENSE_IJLi3EEEEEEENS6_IJNSE_IJLi1ELi2EEEES13_S12_NSE_IJLi5ELi6EEEENSE_IJLi7EEEEEEENSE_IJLi5ELi7ELi6EEEElEES1A_S7_NSL_INS6_IJSR_ST_ST_NSU_INS6_IJiNSO_IiLi128EEEEEELb0EEES1D_EEENS6_IJSZ_S10_S11_S13_S12_EEENS6_IJS15_S13_S12_S16_NSE_IJLi7ELi8EEEEEEENSE_IJLi5ELi6ELi7ELi8EEEElEENS_31BlockToCTileMap_M00_N0_M01AdaptILi128ELi128ENSL_INS6_IJSR_ST_ST_EEENS6_IJSZ_S10_S11_EEENS6_IJS15_S13_S12_EEENSE_IJLi3ELi4EEEElEEiEELb0ELi2EEEvPKT0_PKT1_T2_PT3_T4_T5_T6_T7_T8_T9_T10_T11_.has_dyn_sized_stack, 0
	.set _ZN2ck51kernel_gemm_multiple_d_xdl_cshuffle_lds_direct_loadINS_48GridwiseGemmMultipleD_Xdl_CShuffle_LdsDirectLoadINS_13tensor_layout4gemm8RowMajorENS3_11ColumnMajorENS_5TupleIJEEES4_fffffS7_fNS_16tensor_operation12element_wise11PassThroughESA_SA_LNS_25InMemoryDataOperationEnumE0ELNS8_6device18GemmSpecializationE0ELi1ELi256ELi128ELi128ELi32ELi8ELi8ELi32ELi32ELi2ELi2ENS_8SequenceIJLi4ELi8ELi8EEEENSE_IJLi1ELi0ELi2EEEELi2ELi1ELi1ESF_SG_Li2ELi1ELi1ELi1ELi1ENSE_IJLi1ELi8ELi1ELi8EEEELi4ELNS_13LoopSchedulerE0ELNS_15PipelineVersionE2EfEEffS7_fSA_SA_SA_NS_16TensorDescriptorINS6_IJNS_5EmbedINS6_IJiiEEENS6_IJiNS_17integral_constantIiLi1EEEEEELb0EEENS_11PassThroughIiEEST_NS_7UnMergeINS6_IJiNSO_IiLi8EEEEEELb0EEEST_EEENS6_IJNSE_IJLi0EEEENSE_IJLi1EEEENSE_IJLi2EEEENSE_IJLi4EEEENSE_IJLi3EEEEEEENS6_IJNSE_IJLi1ELi2EEEES13_S12_NSE_IJLi5ELi6EEEENSE_IJLi7EEEEEEENSE_IJLi5ELi7ELi6EEEElEES1A_S7_NSL_INS6_IJSR_ST_ST_NSU_INS6_IJiNSO_IiLi128EEEEEELb0EEES1D_EEENS6_IJSZ_S10_S11_S13_S12_EEENS6_IJS15_S13_S12_S16_NSE_IJLi7ELi8EEEEEEENSE_IJLi5ELi6ELi7ELi8EEEElEENS_31BlockToCTileMap_M00_N0_M01AdaptILi128ELi128ENSL_INS6_IJSR_ST_ST_EEENS6_IJSZ_S10_S11_EEENS6_IJS15_S13_S12_EEENSE_IJLi3ELi4EEEElEEiEELb0ELi2EEEvPKT0_PKT1_T2_PT3_T4_T5_T6_T7_T8_T9_T10_T11_.has_recursion, 0
	.set _ZN2ck51kernel_gemm_multiple_d_xdl_cshuffle_lds_direct_loadINS_48GridwiseGemmMultipleD_Xdl_CShuffle_LdsDirectLoadINS_13tensor_layout4gemm8RowMajorENS3_11ColumnMajorENS_5TupleIJEEES4_fffffS7_fNS_16tensor_operation12element_wise11PassThroughESA_SA_LNS_25InMemoryDataOperationEnumE0ELNS8_6device18GemmSpecializationE0ELi1ELi256ELi128ELi128ELi32ELi8ELi8ELi32ELi32ELi2ELi2ENS_8SequenceIJLi4ELi8ELi8EEEENSE_IJLi1ELi0ELi2EEEELi2ELi1ELi1ESF_SG_Li2ELi1ELi1ELi1ELi1ENSE_IJLi1ELi8ELi1ELi8EEEELi4ELNS_13LoopSchedulerE0ELNS_15PipelineVersionE2EfEEffS7_fSA_SA_SA_NS_16TensorDescriptorINS6_IJNS_5EmbedINS6_IJiiEEENS6_IJiNS_17integral_constantIiLi1EEEEEELb0EEENS_11PassThroughIiEEST_NS_7UnMergeINS6_IJiNSO_IiLi8EEEEEELb0EEEST_EEENS6_IJNSE_IJLi0EEEENSE_IJLi1EEEENSE_IJLi2EEEENSE_IJLi4EEEENSE_IJLi3EEEEEEENS6_IJNSE_IJLi1ELi2EEEES13_S12_NSE_IJLi5ELi6EEEENSE_IJLi7EEEEEEENSE_IJLi5ELi7ELi6EEEElEES1A_S7_NSL_INS6_IJSR_ST_ST_NSU_INS6_IJiNSO_IiLi128EEEEEELb0EEES1D_EEENS6_IJSZ_S10_S11_S13_S12_EEENS6_IJS15_S13_S12_S16_NSE_IJLi7ELi8EEEEEEENSE_IJLi5ELi6ELi7ELi8EEEElEENS_31BlockToCTileMap_M00_N0_M01AdaptILi128ELi128ENSL_INS6_IJSR_ST_ST_EEENS6_IJSZ_S10_S11_EEENS6_IJS15_S13_S12_EEENSE_IJLi3ELi4EEEElEEiEELb0ELi2EEEvPKT0_PKT1_T2_PT3_T4_T5_T6_T7_T8_T9_T10_T11_.has_indirect_call, 0
	.section	.AMDGPU.csdata,"",@progbits
; Kernel info:
; codeLenInByte = 4672
; TotalNumSgprs: 27
; NumVgprs: 88
; NumAgprs: 0
; TotalNumVgprs: 88
; ScratchSize: 0
; MemoryBound: 0
; FloatMode: 240
; IeeeMode: 1
; LDSByteSize: 32768 bytes/workgroup (compile time only)
; SGPRBlocks: 12
; VGPRBlocks: 10
; NumSGPRsForWavesPerEU: 102
; NumVGPRsForWavesPerEU: 88
; AccumOffset: 88
; Occupancy: 5
; WaveLimiterHint : 0
; COMPUTE_PGM_RSRC2:SCRATCH_EN: 0
; COMPUTE_PGM_RSRC2:USER_SGPR: 2
; COMPUTE_PGM_RSRC2:TRAP_HANDLER: 0
; COMPUTE_PGM_RSRC2:TGID_X_EN: 1
; COMPUTE_PGM_RSRC2:TGID_Y_EN: 0
; COMPUTE_PGM_RSRC2:TGID_Z_EN: 0
; COMPUTE_PGM_RSRC2:TIDIG_COMP_CNT: 0
; COMPUTE_PGM_RSRC3_GFX90A:ACCUM_OFFSET: 21
; COMPUTE_PGM_RSRC3_GFX90A:TG_SPLIT: 0
	.section	.text._ZN2ck51kernel_gemm_multiple_d_xdl_cshuffle_lds_direct_loadINS_48GridwiseGemmMultipleD_Xdl_CShuffle_LdsDirectLoadINS_13tensor_layout4gemm8RowMajorENS3_11ColumnMajorENS_5TupleIJEEES4_fffffS7_fNS_16tensor_operation12element_wise11PassThroughESA_SA_LNS_25InMemoryDataOperationEnumE0ELNS8_6device18GemmSpecializationE0ELi1ELi256ELi128ELi128ELi32ELi8ELi8ELi16ELi16ELi4ELi2ENS_8SequenceIJLi4ELi8ELi8EEEENSE_IJLi1ELi0ELi2EEEELi2ELi1ELi1ESF_SG_Li2ELi1ELi1ELi2ELi2ENSE_IJLi1ELi8ELi1ELi8EEEELi4ELNS_13LoopSchedulerE0ELNS_15PipelineVersionE2EfEEffS7_fSA_SA_SA_NS_16TensorDescriptorINS6_IJNS_5EmbedINS6_IJiiEEENS6_IJiNS_17integral_constantIiLi1EEEEEELb0EEENS_11PassThroughIiEEST_NS_7UnMergeINS6_IJiNSO_IiLi8EEEEEELb0EEEST_EEENS6_IJNSE_IJLi0EEEENSE_IJLi1EEEENSE_IJLi2EEEENSE_IJLi4EEEENSE_IJLi3EEEEEEENS6_IJNSE_IJLi1ELi2EEEES13_S12_NSE_IJLi5ELi6EEEENSE_IJLi7EEEEEEENSE_IJLi5ELi7ELi6EEEElEES1A_S7_NSL_INS6_IJSR_ST_ST_NSU_INS6_IJiNSO_IiLi128EEEEEELb0EEES1D_EEENS6_IJSZ_S10_S11_S13_S12_EEENS6_IJS15_S13_S12_S16_NSE_IJLi7ELi8EEEEEEENSE_IJLi5ELi6ELi7ELi8EEEElEENS_31BlockToCTileMap_M00_N0_M01AdaptILi128ELi128ENSL_INS6_IJSR_ST_ST_EEENS6_IJSZ_S10_S11_EEENS6_IJS15_S13_S12_EEENSE_IJLi3ELi4EEEElEEiEELb1ELi2EEEvPKT0_PKT1_T2_PT3_T4_T5_T6_T7_T8_T9_T10_T11_,"axG",@progbits,_ZN2ck51kernel_gemm_multiple_d_xdl_cshuffle_lds_direct_loadINS_48GridwiseGemmMultipleD_Xdl_CShuffle_LdsDirectLoadINS_13tensor_layout4gemm8RowMajorENS3_11ColumnMajorENS_5TupleIJEEES4_fffffS7_fNS_16tensor_operation12element_wise11PassThroughESA_SA_LNS_25InMemoryDataOperationEnumE0ELNS8_6device18GemmSpecializationE0ELi1ELi256ELi128ELi128ELi32ELi8ELi8ELi16ELi16ELi4ELi2ENS_8SequenceIJLi4ELi8ELi8EEEENSE_IJLi1ELi0ELi2EEEELi2ELi1ELi1ESF_SG_Li2ELi1ELi1ELi2ELi2ENSE_IJLi1ELi8ELi1ELi8EEEELi4ELNS_13LoopSchedulerE0ELNS_15PipelineVersionE2EfEEffS7_fSA_SA_SA_NS_16TensorDescriptorINS6_IJNS_5EmbedINS6_IJiiEEENS6_IJiNS_17integral_constantIiLi1EEEEEELb0EEENS_11PassThroughIiEEST_NS_7UnMergeINS6_IJiNSO_IiLi8EEEEEELb0EEEST_EEENS6_IJNSE_IJLi0EEEENSE_IJLi1EEEENSE_IJLi2EEEENSE_IJLi4EEEENSE_IJLi3EEEEEEENS6_IJNSE_IJLi1ELi2EEEES13_S12_NSE_IJLi5ELi6EEEENSE_IJLi7EEEEEEENSE_IJLi5ELi7ELi6EEEElEES1A_S7_NSL_INS6_IJSR_ST_ST_NSU_INS6_IJiNSO_IiLi128EEEEEELb0EEES1D_EEENS6_IJSZ_S10_S11_S13_S12_EEENS6_IJS15_S13_S12_S16_NSE_IJLi7ELi8EEEEEEENSE_IJLi5ELi6ELi7ELi8EEEElEENS_31BlockToCTileMap_M00_N0_M01AdaptILi128ELi128ENSL_INS6_IJSR_ST_ST_EEENS6_IJSZ_S10_S11_EEENS6_IJS15_S13_S12_EEENSE_IJLi3ELi4EEEElEEiEELb1ELi2EEEvPKT0_PKT1_T2_PT3_T4_T5_T6_T7_T8_T9_T10_T11_,comdat
	.protected	_ZN2ck51kernel_gemm_multiple_d_xdl_cshuffle_lds_direct_loadINS_48GridwiseGemmMultipleD_Xdl_CShuffle_LdsDirectLoadINS_13tensor_layout4gemm8RowMajorENS3_11ColumnMajorENS_5TupleIJEEES4_fffffS7_fNS_16tensor_operation12element_wise11PassThroughESA_SA_LNS_25InMemoryDataOperationEnumE0ELNS8_6device18GemmSpecializationE0ELi1ELi256ELi128ELi128ELi32ELi8ELi8ELi16ELi16ELi4ELi2ENS_8SequenceIJLi4ELi8ELi8EEEENSE_IJLi1ELi0ELi2EEEELi2ELi1ELi1ESF_SG_Li2ELi1ELi1ELi2ELi2ENSE_IJLi1ELi8ELi1ELi8EEEELi4ELNS_13LoopSchedulerE0ELNS_15PipelineVersionE2EfEEffS7_fSA_SA_SA_NS_16TensorDescriptorINS6_IJNS_5EmbedINS6_IJiiEEENS6_IJiNS_17integral_constantIiLi1EEEEEELb0EEENS_11PassThroughIiEEST_NS_7UnMergeINS6_IJiNSO_IiLi8EEEEEELb0EEEST_EEENS6_IJNSE_IJLi0EEEENSE_IJLi1EEEENSE_IJLi2EEEENSE_IJLi4EEEENSE_IJLi3EEEEEEENS6_IJNSE_IJLi1ELi2EEEES13_S12_NSE_IJLi5ELi6EEEENSE_IJLi7EEEEEEENSE_IJLi5ELi7ELi6EEEElEES1A_S7_NSL_INS6_IJSR_ST_ST_NSU_INS6_IJiNSO_IiLi128EEEEEELb0EEES1D_EEENS6_IJSZ_S10_S11_S13_S12_EEENS6_IJS15_S13_S12_S16_NSE_IJLi7ELi8EEEEEEENSE_IJLi5ELi6ELi7ELi8EEEElEENS_31BlockToCTileMap_M00_N0_M01AdaptILi128ELi128ENSL_INS6_IJSR_ST_ST_EEENS6_IJSZ_S10_S11_EEENS6_IJS15_S13_S12_EEENSE_IJLi3ELi4EEEElEEiEELb1ELi2EEEvPKT0_PKT1_T2_PT3_T4_T5_T6_T7_T8_T9_T10_T11_ ; -- Begin function _ZN2ck51kernel_gemm_multiple_d_xdl_cshuffle_lds_direct_loadINS_48GridwiseGemmMultipleD_Xdl_CShuffle_LdsDirectLoadINS_13tensor_layout4gemm8RowMajorENS3_11ColumnMajorENS_5TupleIJEEES4_fffffS7_fNS_16tensor_operation12element_wise11PassThroughESA_SA_LNS_25InMemoryDataOperationEnumE0ELNS8_6device18GemmSpecializationE0ELi1ELi256ELi128ELi128ELi32ELi8ELi8ELi16ELi16ELi4ELi2ENS_8SequenceIJLi4ELi8ELi8EEEENSE_IJLi1ELi0ELi2EEEELi2ELi1ELi1ESF_SG_Li2ELi1ELi1ELi2ELi2ENSE_IJLi1ELi8ELi1ELi8EEEELi4ELNS_13LoopSchedulerE0ELNS_15PipelineVersionE2EfEEffS7_fSA_SA_SA_NS_16TensorDescriptorINS6_IJNS_5EmbedINS6_IJiiEEENS6_IJiNS_17integral_constantIiLi1EEEEEELb0EEENS_11PassThroughIiEEST_NS_7UnMergeINS6_IJiNSO_IiLi8EEEEEELb0EEEST_EEENS6_IJNSE_IJLi0EEEENSE_IJLi1EEEENSE_IJLi2EEEENSE_IJLi4EEEENSE_IJLi3EEEEEEENS6_IJNSE_IJLi1ELi2EEEES13_S12_NSE_IJLi5ELi6EEEENSE_IJLi7EEEEEEENSE_IJLi5ELi7ELi6EEEElEES1A_S7_NSL_INS6_IJSR_ST_ST_NSU_INS6_IJiNSO_IiLi128EEEEEELb0EEES1D_EEENS6_IJSZ_S10_S11_S13_S12_EEENS6_IJS15_S13_S12_S16_NSE_IJLi7ELi8EEEEEEENSE_IJLi5ELi6ELi7ELi8EEEElEENS_31BlockToCTileMap_M00_N0_M01AdaptILi128ELi128ENSL_INS6_IJSR_ST_ST_EEENS6_IJSZ_S10_S11_EEENS6_IJS15_S13_S12_EEENSE_IJLi3ELi4EEEElEEiEELb1ELi2EEEvPKT0_PKT1_T2_PT3_T4_T5_T6_T7_T8_T9_T10_T11_
	.globl	_ZN2ck51kernel_gemm_multiple_d_xdl_cshuffle_lds_direct_loadINS_48GridwiseGemmMultipleD_Xdl_CShuffle_LdsDirectLoadINS_13tensor_layout4gemm8RowMajorENS3_11ColumnMajorENS_5TupleIJEEES4_fffffS7_fNS_16tensor_operation12element_wise11PassThroughESA_SA_LNS_25InMemoryDataOperationEnumE0ELNS8_6device18GemmSpecializationE0ELi1ELi256ELi128ELi128ELi32ELi8ELi8ELi16ELi16ELi4ELi2ENS_8SequenceIJLi4ELi8ELi8EEEENSE_IJLi1ELi0ELi2EEEELi2ELi1ELi1ESF_SG_Li2ELi1ELi1ELi2ELi2ENSE_IJLi1ELi8ELi1ELi8EEEELi4ELNS_13LoopSchedulerE0ELNS_15PipelineVersionE2EfEEffS7_fSA_SA_SA_NS_16TensorDescriptorINS6_IJNS_5EmbedINS6_IJiiEEENS6_IJiNS_17integral_constantIiLi1EEEEEELb0EEENS_11PassThroughIiEEST_NS_7UnMergeINS6_IJiNSO_IiLi8EEEEEELb0EEEST_EEENS6_IJNSE_IJLi0EEEENSE_IJLi1EEEENSE_IJLi2EEEENSE_IJLi4EEEENSE_IJLi3EEEEEEENS6_IJNSE_IJLi1ELi2EEEES13_S12_NSE_IJLi5ELi6EEEENSE_IJLi7EEEEEEENSE_IJLi5ELi7ELi6EEEElEES1A_S7_NSL_INS6_IJSR_ST_ST_NSU_INS6_IJiNSO_IiLi128EEEEEELb0EEES1D_EEENS6_IJSZ_S10_S11_S13_S12_EEENS6_IJS15_S13_S12_S16_NSE_IJLi7ELi8EEEEEEENSE_IJLi5ELi6ELi7ELi8EEEElEENS_31BlockToCTileMap_M00_N0_M01AdaptILi128ELi128ENSL_INS6_IJSR_ST_ST_EEENS6_IJSZ_S10_S11_EEENS6_IJS15_S13_S12_EEENSE_IJLi3ELi4EEEElEEiEELb1ELi2EEEvPKT0_PKT1_T2_PT3_T4_T5_T6_T7_T8_T9_T10_T11_
	.p2align	8
	.type	_ZN2ck51kernel_gemm_multiple_d_xdl_cshuffle_lds_direct_loadINS_48GridwiseGemmMultipleD_Xdl_CShuffle_LdsDirectLoadINS_13tensor_layout4gemm8RowMajorENS3_11ColumnMajorENS_5TupleIJEEES4_fffffS7_fNS_16tensor_operation12element_wise11PassThroughESA_SA_LNS_25InMemoryDataOperationEnumE0ELNS8_6device18GemmSpecializationE0ELi1ELi256ELi128ELi128ELi32ELi8ELi8ELi16ELi16ELi4ELi2ENS_8SequenceIJLi4ELi8ELi8EEEENSE_IJLi1ELi0ELi2EEEELi2ELi1ELi1ESF_SG_Li2ELi1ELi1ELi2ELi2ENSE_IJLi1ELi8ELi1ELi8EEEELi4ELNS_13LoopSchedulerE0ELNS_15PipelineVersionE2EfEEffS7_fSA_SA_SA_NS_16TensorDescriptorINS6_IJNS_5EmbedINS6_IJiiEEENS6_IJiNS_17integral_constantIiLi1EEEEEELb0EEENS_11PassThroughIiEEST_NS_7UnMergeINS6_IJiNSO_IiLi8EEEEEELb0EEEST_EEENS6_IJNSE_IJLi0EEEENSE_IJLi1EEEENSE_IJLi2EEEENSE_IJLi4EEEENSE_IJLi3EEEEEEENS6_IJNSE_IJLi1ELi2EEEES13_S12_NSE_IJLi5ELi6EEEENSE_IJLi7EEEEEEENSE_IJLi5ELi7ELi6EEEElEES1A_S7_NSL_INS6_IJSR_ST_ST_NSU_INS6_IJiNSO_IiLi128EEEEEELb0EEES1D_EEENS6_IJSZ_S10_S11_S13_S12_EEENS6_IJS15_S13_S12_S16_NSE_IJLi7ELi8EEEEEEENSE_IJLi5ELi6ELi7ELi8EEEElEENS_31BlockToCTileMap_M00_N0_M01AdaptILi128ELi128ENSL_INS6_IJSR_ST_ST_EEENS6_IJSZ_S10_S11_EEENS6_IJS15_S13_S12_EEENSE_IJLi3ELi4EEEElEEiEELb1ELi2EEEvPKT0_PKT1_T2_PT3_T4_T5_T6_T7_T8_T9_T10_T11_,@function
_ZN2ck51kernel_gemm_multiple_d_xdl_cshuffle_lds_direct_loadINS_48GridwiseGemmMultipleD_Xdl_CShuffle_LdsDirectLoadINS_13tensor_layout4gemm8RowMajorENS3_11ColumnMajorENS_5TupleIJEEES4_fffffS7_fNS_16tensor_operation12element_wise11PassThroughESA_SA_LNS_25InMemoryDataOperationEnumE0ELNS8_6device18GemmSpecializationE0ELi1ELi256ELi128ELi128ELi32ELi8ELi8ELi16ELi16ELi4ELi2ENS_8SequenceIJLi4ELi8ELi8EEEENSE_IJLi1ELi0ELi2EEEELi2ELi1ELi1ESF_SG_Li2ELi1ELi1ELi2ELi2ENSE_IJLi1ELi8ELi1ELi8EEEELi4ELNS_13LoopSchedulerE0ELNS_15PipelineVersionE2EfEEffS7_fSA_SA_SA_NS_16TensorDescriptorINS6_IJNS_5EmbedINS6_IJiiEEENS6_IJiNS_17integral_constantIiLi1EEEEEELb0EEENS_11PassThroughIiEEST_NS_7UnMergeINS6_IJiNSO_IiLi8EEEEEELb0EEEST_EEENS6_IJNSE_IJLi0EEEENSE_IJLi1EEEENSE_IJLi2EEEENSE_IJLi4EEEENSE_IJLi3EEEEEEENS6_IJNSE_IJLi1ELi2EEEES13_S12_NSE_IJLi5ELi6EEEENSE_IJLi7EEEEEEENSE_IJLi5ELi7ELi6EEEElEES1A_S7_NSL_INS6_IJSR_ST_ST_NSU_INS6_IJiNSO_IiLi128EEEEEELb0EEES1D_EEENS6_IJSZ_S10_S11_S13_S12_EEENS6_IJS15_S13_S12_S16_NSE_IJLi7ELi8EEEEEEENSE_IJLi5ELi6ELi7ELi8EEEElEENS_31BlockToCTileMap_M00_N0_M01AdaptILi128ELi128ENSL_INS6_IJSR_ST_ST_EEENS6_IJSZ_S10_S11_EEENS6_IJS15_S13_S12_EEENSE_IJLi3ELi4EEEElEEiEELb1ELi2EEEvPKT0_PKT1_T2_PT3_T4_T5_T6_T7_T8_T9_T10_T11_: ; @_ZN2ck51kernel_gemm_multiple_d_xdl_cshuffle_lds_direct_loadINS_48GridwiseGemmMultipleD_Xdl_CShuffle_LdsDirectLoadINS_13tensor_layout4gemm8RowMajorENS3_11ColumnMajorENS_5TupleIJEEES4_fffffS7_fNS_16tensor_operation12element_wise11PassThroughESA_SA_LNS_25InMemoryDataOperationEnumE0ELNS8_6device18GemmSpecializationE0ELi1ELi256ELi128ELi128ELi32ELi8ELi8ELi16ELi16ELi4ELi2ENS_8SequenceIJLi4ELi8ELi8EEEENSE_IJLi1ELi0ELi2EEEELi2ELi1ELi1ESF_SG_Li2ELi1ELi1ELi2ELi2ENSE_IJLi1ELi8ELi1ELi8EEEELi4ELNS_13LoopSchedulerE0ELNS_15PipelineVersionE2EfEEffS7_fSA_SA_SA_NS_16TensorDescriptorINS6_IJNS_5EmbedINS6_IJiiEEENS6_IJiNS_17integral_constantIiLi1EEEEEELb0EEENS_11PassThroughIiEEST_NS_7UnMergeINS6_IJiNSO_IiLi8EEEEEELb0EEEST_EEENS6_IJNSE_IJLi0EEEENSE_IJLi1EEEENSE_IJLi2EEEENSE_IJLi4EEEENSE_IJLi3EEEEEEENS6_IJNSE_IJLi1ELi2EEEES13_S12_NSE_IJLi5ELi6EEEENSE_IJLi7EEEEEEENSE_IJLi5ELi7ELi6EEEElEES1A_S7_NSL_INS6_IJSR_ST_ST_NSU_INS6_IJiNSO_IiLi128EEEEEELb0EEES1D_EEENS6_IJSZ_S10_S11_S13_S12_EEENS6_IJS15_S13_S12_S16_NSE_IJLi7ELi8EEEEEEENSE_IJLi5ELi6ELi7ELi8EEEElEENS_31BlockToCTileMap_M00_N0_M01AdaptILi128ELi128ENSL_INS6_IJSR_ST_ST_EEENS6_IJSZ_S10_S11_EEENS6_IJS15_S13_S12_EEENSE_IJLi3ELi4EEEElEEiEELb1ELi2EEEvPKT0_PKT1_T2_PT3_T4_T5_T6_T7_T8_T9_T10_T11_
; %bb.0:
	s_endpgm
	.section	.rodata,"a",@progbits
	.p2align	6, 0x0
	.amdhsa_kernel _ZN2ck51kernel_gemm_multiple_d_xdl_cshuffle_lds_direct_loadINS_48GridwiseGemmMultipleD_Xdl_CShuffle_LdsDirectLoadINS_13tensor_layout4gemm8RowMajorENS3_11ColumnMajorENS_5TupleIJEEES4_fffffS7_fNS_16tensor_operation12element_wise11PassThroughESA_SA_LNS_25InMemoryDataOperationEnumE0ELNS8_6device18GemmSpecializationE0ELi1ELi256ELi128ELi128ELi32ELi8ELi8ELi16ELi16ELi4ELi2ENS_8SequenceIJLi4ELi8ELi8EEEENSE_IJLi1ELi0ELi2EEEELi2ELi1ELi1ESF_SG_Li2ELi1ELi1ELi2ELi2ENSE_IJLi1ELi8ELi1ELi8EEEELi4ELNS_13LoopSchedulerE0ELNS_15PipelineVersionE2EfEEffS7_fSA_SA_SA_NS_16TensorDescriptorINS6_IJNS_5EmbedINS6_IJiiEEENS6_IJiNS_17integral_constantIiLi1EEEEEELb0EEENS_11PassThroughIiEEST_NS_7UnMergeINS6_IJiNSO_IiLi8EEEEEELb0EEEST_EEENS6_IJNSE_IJLi0EEEENSE_IJLi1EEEENSE_IJLi2EEEENSE_IJLi4EEEENSE_IJLi3EEEEEEENS6_IJNSE_IJLi1ELi2EEEES13_S12_NSE_IJLi5ELi6EEEENSE_IJLi7EEEEEEENSE_IJLi5ELi7ELi6EEEElEES1A_S7_NSL_INS6_IJSR_ST_ST_NSU_INS6_IJiNSO_IiLi128EEEEEELb0EEES1D_EEENS6_IJSZ_S10_S11_S13_S12_EEENS6_IJS15_S13_S12_S16_NSE_IJLi7ELi8EEEEEEENSE_IJLi5ELi6ELi7ELi8EEEElEENS_31BlockToCTileMap_M00_N0_M01AdaptILi128ELi128ENSL_INS6_IJSR_ST_ST_EEENS6_IJSZ_S10_S11_EEENS6_IJS15_S13_S12_EEENSE_IJLi3ELi4EEEElEEiEELb1ELi2EEEvPKT0_PKT1_T2_PT3_T4_T5_T6_T7_T8_T9_T10_T11_
		.amdhsa_group_segment_fixed_size 0
		.amdhsa_private_segment_fixed_size 0
		.amdhsa_kernarg_size 236
		.amdhsa_user_sgpr_count 2
		.amdhsa_user_sgpr_dispatch_ptr 0
		.amdhsa_user_sgpr_queue_ptr 0
		.amdhsa_user_sgpr_kernarg_segment_ptr 1
		.amdhsa_user_sgpr_dispatch_id 0
		.amdhsa_user_sgpr_kernarg_preload_length 0
		.amdhsa_user_sgpr_kernarg_preload_offset 0
		.amdhsa_user_sgpr_private_segment_size 0
		.amdhsa_uses_dynamic_stack 0
		.amdhsa_enable_private_segment 0
		.amdhsa_system_sgpr_workgroup_id_x 1
		.amdhsa_system_sgpr_workgroup_id_y 0
		.amdhsa_system_sgpr_workgroup_id_z 0
		.amdhsa_system_sgpr_workgroup_info 0
		.amdhsa_system_vgpr_workitem_id 0
		.amdhsa_next_free_vgpr 1
		.amdhsa_next_free_sgpr 0
		.amdhsa_accum_offset 4
		.amdhsa_reserve_vcc 0
		.amdhsa_float_round_mode_32 0
		.amdhsa_float_round_mode_16_64 0
		.amdhsa_float_denorm_mode_32 3
		.amdhsa_float_denorm_mode_16_64 3
		.amdhsa_dx10_clamp 1
		.amdhsa_ieee_mode 1
		.amdhsa_fp16_overflow 0
		.amdhsa_tg_split 0
		.amdhsa_exception_fp_ieee_invalid_op 0
		.amdhsa_exception_fp_denorm_src 0
		.amdhsa_exception_fp_ieee_div_zero 0
		.amdhsa_exception_fp_ieee_overflow 0
		.amdhsa_exception_fp_ieee_underflow 0
		.amdhsa_exception_fp_ieee_inexact 0
		.amdhsa_exception_int_div_zero 0
	.end_amdhsa_kernel
	.section	.text._ZN2ck51kernel_gemm_multiple_d_xdl_cshuffle_lds_direct_loadINS_48GridwiseGemmMultipleD_Xdl_CShuffle_LdsDirectLoadINS_13tensor_layout4gemm8RowMajorENS3_11ColumnMajorENS_5TupleIJEEES4_fffffS7_fNS_16tensor_operation12element_wise11PassThroughESA_SA_LNS_25InMemoryDataOperationEnumE0ELNS8_6device18GemmSpecializationE0ELi1ELi256ELi128ELi128ELi32ELi8ELi8ELi16ELi16ELi4ELi2ENS_8SequenceIJLi4ELi8ELi8EEEENSE_IJLi1ELi0ELi2EEEELi2ELi1ELi1ESF_SG_Li2ELi1ELi1ELi2ELi2ENSE_IJLi1ELi8ELi1ELi8EEEELi4ELNS_13LoopSchedulerE0ELNS_15PipelineVersionE2EfEEffS7_fSA_SA_SA_NS_16TensorDescriptorINS6_IJNS_5EmbedINS6_IJiiEEENS6_IJiNS_17integral_constantIiLi1EEEEEELb0EEENS_11PassThroughIiEEST_NS_7UnMergeINS6_IJiNSO_IiLi8EEEEEELb0EEEST_EEENS6_IJNSE_IJLi0EEEENSE_IJLi1EEEENSE_IJLi2EEEENSE_IJLi4EEEENSE_IJLi3EEEEEEENS6_IJNSE_IJLi1ELi2EEEES13_S12_NSE_IJLi5ELi6EEEENSE_IJLi7EEEEEEENSE_IJLi5ELi7ELi6EEEElEES1A_S7_NSL_INS6_IJSR_ST_ST_NSU_INS6_IJiNSO_IiLi128EEEEEELb0EEES1D_EEENS6_IJSZ_S10_S11_S13_S12_EEENS6_IJS15_S13_S12_S16_NSE_IJLi7ELi8EEEEEEENSE_IJLi5ELi6ELi7ELi8EEEElEENS_31BlockToCTileMap_M00_N0_M01AdaptILi128ELi128ENSL_INS6_IJSR_ST_ST_EEENS6_IJSZ_S10_S11_EEENS6_IJS15_S13_S12_EEENSE_IJLi3ELi4EEEElEEiEELb1ELi2EEEvPKT0_PKT1_T2_PT3_T4_T5_T6_T7_T8_T9_T10_T11_,"axG",@progbits,_ZN2ck51kernel_gemm_multiple_d_xdl_cshuffle_lds_direct_loadINS_48GridwiseGemmMultipleD_Xdl_CShuffle_LdsDirectLoadINS_13tensor_layout4gemm8RowMajorENS3_11ColumnMajorENS_5TupleIJEEES4_fffffS7_fNS_16tensor_operation12element_wise11PassThroughESA_SA_LNS_25InMemoryDataOperationEnumE0ELNS8_6device18GemmSpecializationE0ELi1ELi256ELi128ELi128ELi32ELi8ELi8ELi16ELi16ELi4ELi2ENS_8SequenceIJLi4ELi8ELi8EEEENSE_IJLi1ELi0ELi2EEEELi2ELi1ELi1ESF_SG_Li2ELi1ELi1ELi2ELi2ENSE_IJLi1ELi8ELi1ELi8EEEELi4ELNS_13LoopSchedulerE0ELNS_15PipelineVersionE2EfEEffS7_fSA_SA_SA_NS_16TensorDescriptorINS6_IJNS_5EmbedINS6_IJiiEEENS6_IJiNS_17integral_constantIiLi1EEEEEELb0EEENS_11PassThroughIiEEST_NS_7UnMergeINS6_IJiNSO_IiLi8EEEEEELb0EEEST_EEENS6_IJNSE_IJLi0EEEENSE_IJLi1EEEENSE_IJLi2EEEENSE_IJLi4EEEENSE_IJLi3EEEEEEENS6_IJNSE_IJLi1ELi2EEEES13_S12_NSE_IJLi5ELi6EEEENSE_IJLi7EEEEEEENSE_IJLi5ELi7ELi6EEEElEES1A_S7_NSL_INS6_IJSR_ST_ST_NSU_INS6_IJiNSO_IiLi128EEEEEELb0EEES1D_EEENS6_IJSZ_S10_S11_S13_S12_EEENS6_IJS15_S13_S12_S16_NSE_IJLi7ELi8EEEEEEENSE_IJLi5ELi6ELi7ELi8EEEElEENS_31BlockToCTileMap_M00_N0_M01AdaptILi128ELi128ENSL_INS6_IJSR_ST_ST_EEENS6_IJSZ_S10_S11_EEENS6_IJS15_S13_S12_EEENSE_IJLi3ELi4EEEElEEiEELb1ELi2EEEvPKT0_PKT1_T2_PT3_T4_T5_T6_T7_T8_T9_T10_T11_,comdat
.Lfunc_end3:
	.size	_ZN2ck51kernel_gemm_multiple_d_xdl_cshuffle_lds_direct_loadINS_48GridwiseGemmMultipleD_Xdl_CShuffle_LdsDirectLoadINS_13tensor_layout4gemm8RowMajorENS3_11ColumnMajorENS_5TupleIJEEES4_fffffS7_fNS_16tensor_operation12element_wise11PassThroughESA_SA_LNS_25InMemoryDataOperationEnumE0ELNS8_6device18GemmSpecializationE0ELi1ELi256ELi128ELi128ELi32ELi8ELi8ELi16ELi16ELi4ELi2ENS_8SequenceIJLi4ELi8ELi8EEEENSE_IJLi1ELi0ELi2EEEELi2ELi1ELi1ESF_SG_Li2ELi1ELi1ELi2ELi2ENSE_IJLi1ELi8ELi1ELi8EEEELi4ELNS_13LoopSchedulerE0ELNS_15PipelineVersionE2EfEEffS7_fSA_SA_SA_NS_16TensorDescriptorINS6_IJNS_5EmbedINS6_IJiiEEENS6_IJiNS_17integral_constantIiLi1EEEEEELb0EEENS_11PassThroughIiEEST_NS_7UnMergeINS6_IJiNSO_IiLi8EEEEEELb0EEEST_EEENS6_IJNSE_IJLi0EEEENSE_IJLi1EEEENSE_IJLi2EEEENSE_IJLi4EEEENSE_IJLi3EEEEEEENS6_IJNSE_IJLi1ELi2EEEES13_S12_NSE_IJLi5ELi6EEEENSE_IJLi7EEEEEEENSE_IJLi5ELi7ELi6EEEElEES1A_S7_NSL_INS6_IJSR_ST_ST_NSU_INS6_IJiNSO_IiLi128EEEEEELb0EEES1D_EEENS6_IJSZ_S10_S11_S13_S12_EEENS6_IJS15_S13_S12_S16_NSE_IJLi7ELi8EEEEEEENSE_IJLi5ELi6ELi7ELi8EEEElEENS_31BlockToCTileMap_M00_N0_M01AdaptILi128ELi128ENSL_INS6_IJSR_ST_ST_EEENS6_IJSZ_S10_S11_EEENS6_IJS15_S13_S12_EEENSE_IJLi3ELi4EEEElEEiEELb1ELi2EEEvPKT0_PKT1_T2_PT3_T4_T5_T6_T7_T8_T9_T10_T11_, .Lfunc_end3-_ZN2ck51kernel_gemm_multiple_d_xdl_cshuffle_lds_direct_loadINS_48GridwiseGemmMultipleD_Xdl_CShuffle_LdsDirectLoadINS_13tensor_layout4gemm8RowMajorENS3_11ColumnMajorENS_5TupleIJEEES4_fffffS7_fNS_16tensor_operation12element_wise11PassThroughESA_SA_LNS_25InMemoryDataOperationEnumE0ELNS8_6device18GemmSpecializationE0ELi1ELi256ELi128ELi128ELi32ELi8ELi8ELi16ELi16ELi4ELi2ENS_8SequenceIJLi4ELi8ELi8EEEENSE_IJLi1ELi0ELi2EEEELi2ELi1ELi1ESF_SG_Li2ELi1ELi1ELi2ELi2ENSE_IJLi1ELi8ELi1ELi8EEEELi4ELNS_13LoopSchedulerE0ELNS_15PipelineVersionE2EfEEffS7_fSA_SA_SA_NS_16TensorDescriptorINS6_IJNS_5EmbedINS6_IJiiEEENS6_IJiNS_17integral_constantIiLi1EEEEEELb0EEENS_11PassThroughIiEEST_NS_7UnMergeINS6_IJiNSO_IiLi8EEEEEELb0EEEST_EEENS6_IJNSE_IJLi0EEEENSE_IJLi1EEEENSE_IJLi2EEEENSE_IJLi4EEEENSE_IJLi3EEEEEEENS6_IJNSE_IJLi1ELi2EEEES13_S12_NSE_IJLi5ELi6EEEENSE_IJLi7EEEEEEENSE_IJLi5ELi7ELi6EEEElEES1A_S7_NSL_INS6_IJSR_ST_ST_NSU_INS6_IJiNSO_IiLi128EEEEEELb0EEES1D_EEENS6_IJSZ_S10_S11_S13_S12_EEENS6_IJS15_S13_S12_S16_NSE_IJLi7ELi8EEEEEEENSE_IJLi5ELi6ELi7ELi8EEEElEENS_31BlockToCTileMap_M00_N0_M01AdaptILi128ELi128ENSL_INS6_IJSR_ST_ST_EEENS6_IJSZ_S10_S11_EEENS6_IJS15_S13_S12_EEENSE_IJLi3ELi4EEEElEEiEELb1ELi2EEEvPKT0_PKT1_T2_PT3_T4_T5_T6_T7_T8_T9_T10_T11_
                                        ; -- End function
	.set _ZN2ck51kernel_gemm_multiple_d_xdl_cshuffle_lds_direct_loadINS_48GridwiseGemmMultipleD_Xdl_CShuffle_LdsDirectLoadINS_13tensor_layout4gemm8RowMajorENS3_11ColumnMajorENS_5TupleIJEEES4_fffffS7_fNS_16tensor_operation12element_wise11PassThroughESA_SA_LNS_25InMemoryDataOperationEnumE0ELNS8_6device18GemmSpecializationE0ELi1ELi256ELi128ELi128ELi32ELi8ELi8ELi16ELi16ELi4ELi2ENS_8SequenceIJLi4ELi8ELi8EEEENSE_IJLi1ELi0ELi2EEEELi2ELi1ELi1ESF_SG_Li2ELi1ELi1ELi2ELi2ENSE_IJLi1ELi8ELi1ELi8EEEELi4ELNS_13LoopSchedulerE0ELNS_15PipelineVersionE2EfEEffS7_fSA_SA_SA_NS_16TensorDescriptorINS6_IJNS_5EmbedINS6_IJiiEEENS6_IJiNS_17integral_constantIiLi1EEEEEELb0EEENS_11PassThroughIiEEST_NS_7UnMergeINS6_IJiNSO_IiLi8EEEEEELb0EEEST_EEENS6_IJNSE_IJLi0EEEENSE_IJLi1EEEENSE_IJLi2EEEENSE_IJLi4EEEENSE_IJLi3EEEEEEENS6_IJNSE_IJLi1ELi2EEEES13_S12_NSE_IJLi5ELi6EEEENSE_IJLi7EEEEEEENSE_IJLi5ELi7ELi6EEEElEES1A_S7_NSL_INS6_IJSR_ST_ST_NSU_INS6_IJiNSO_IiLi128EEEEEELb0EEES1D_EEENS6_IJSZ_S10_S11_S13_S12_EEENS6_IJS15_S13_S12_S16_NSE_IJLi7ELi8EEEEEEENSE_IJLi5ELi6ELi7ELi8EEEElEENS_31BlockToCTileMap_M00_N0_M01AdaptILi128ELi128ENSL_INS6_IJSR_ST_ST_EEENS6_IJSZ_S10_S11_EEENS6_IJS15_S13_S12_EEENSE_IJLi3ELi4EEEElEEiEELb1ELi2EEEvPKT0_PKT1_T2_PT3_T4_T5_T6_T7_T8_T9_T10_T11_.num_vgpr, 0
	.set _ZN2ck51kernel_gemm_multiple_d_xdl_cshuffle_lds_direct_loadINS_48GridwiseGemmMultipleD_Xdl_CShuffle_LdsDirectLoadINS_13tensor_layout4gemm8RowMajorENS3_11ColumnMajorENS_5TupleIJEEES4_fffffS7_fNS_16tensor_operation12element_wise11PassThroughESA_SA_LNS_25InMemoryDataOperationEnumE0ELNS8_6device18GemmSpecializationE0ELi1ELi256ELi128ELi128ELi32ELi8ELi8ELi16ELi16ELi4ELi2ENS_8SequenceIJLi4ELi8ELi8EEEENSE_IJLi1ELi0ELi2EEEELi2ELi1ELi1ESF_SG_Li2ELi1ELi1ELi2ELi2ENSE_IJLi1ELi8ELi1ELi8EEEELi4ELNS_13LoopSchedulerE0ELNS_15PipelineVersionE2EfEEffS7_fSA_SA_SA_NS_16TensorDescriptorINS6_IJNS_5EmbedINS6_IJiiEEENS6_IJiNS_17integral_constantIiLi1EEEEEELb0EEENS_11PassThroughIiEEST_NS_7UnMergeINS6_IJiNSO_IiLi8EEEEEELb0EEEST_EEENS6_IJNSE_IJLi0EEEENSE_IJLi1EEEENSE_IJLi2EEEENSE_IJLi4EEEENSE_IJLi3EEEEEEENS6_IJNSE_IJLi1ELi2EEEES13_S12_NSE_IJLi5ELi6EEEENSE_IJLi7EEEEEEENSE_IJLi5ELi7ELi6EEEElEES1A_S7_NSL_INS6_IJSR_ST_ST_NSU_INS6_IJiNSO_IiLi128EEEEEELb0EEES1D_EEENS6_IJSZ_S10_S11_S13_S12_EEENS6_IJS15_S13_S12_S16_NSE_IJLi7ELi8EEEEEEENSE_IJLi5ELi6ELi7ELi8EEEElEENS_31BlockToCTileMap_M00_N0_M01AdaptILi128ELi128ENSL_INS6_IJSR_ST_ST_EEENS6_IJSZ_S10_S11_EEENS6_IJS15_S13_S12_EEENSE_IJLi3ELi4EEEElEEiEELb1ELi2EEEvPKT0_PKT1_T2_PT3_T4_T5_T6_T7_T8_T9_T10_T11_.num_agpr, 0
	.set _ZN2ck51kernel_gemm_multiple_d_xdl_cshuffle_lds_direct_loadINS_48GridwiseGemmMultipleD_Xdl_CShuffle_LdsDirectLoadINS_13tensor_layout4gemm8RowMajorENS3_11ColumnMajorENS_5TupleIJEEES4_fffffS7_fNS_16tensor_operation12element_wise11PassThroughESA_SA_LNS_25InMemoryDataOperationEnumE0ELNS8_6device18GemmSpecializationE0ELi1ELi256ELi128ELi128ELi32ELi8ELi8ELi16ELi16ELi4ELi2ENS_8SequenceIJLi4ELi8ELi8EEEENSE_IJLi1ELi0ELi2EEEELi2ELi1ELi1ESF_SG_Li2ELi1ELi1ELi2ELi2ENSE_IJLi1ELi8ELi1ELi8EEEELi4ELNS_13LoopSchedulerE0ELNS_15PipelineVersionE2EfEEffS7_fSA_SA_SA_NS_16TensorDescriptorINS6_IJNS_5EmbedINS6_IJiiEEENS6_IJiNS_17integral_constantIiLi1EEEEEELb0EEENS_11PassThroughIiEEST_NS_7UnMergeINS6_IJiNSO_IiLi8EEEEEELb0EEEST_EEENS6_IJNSE_IJLi0EEEENSE_IJLi1EEEENSE_IJLi2EEEENSE_IJLi4EEEENSE_IJLi3EEEEEEENS6_IJNSE_IJLi1ELi2EEEES13_S12_NSE_IJLi5ELi6EEEENSE_IJLi7EEEEEEENSE_IJLi5ELi7ELi6EEEElEES1A_S7_NSL_INS6_IJSR_ST_ST_NSU_INS6_IJiNSO_IiLi128EEEEEELb0EEES1D_EEENS6_IJSZ_S10_S11_S13_S12_EEENS6_IJS15_S13_S12_S16_NSE_IJLi7ELi8EEEEEEENSE_IJLi5ELi6ELi7ELi8EEEElEENS_31BlockToCTileMap_M00_N0_M01AdaptILi128ELi128ENSL_INS6_IJSR_ST_ST_EEENS6_IJSZ_S10_S11_EEENS6_IJS15_S13_S12_EEENSE_IJLi3ELi4EEEElEEiEELb1ELi2EEEvPKT0_PKT1_T2_PT3_T4_T5_T6_T7_T8_T9_T10_T11_.numbered_sgpr, 0
	.set _ZN2ck51kernel_gemm_multiple_d_xdl_cshuffle_lds_direct_loadINS_48GridwiseGemmMultipleD_Xdl_CShuffle_LdsDirectLoadINS_13tensor_layout4gemm8RowMajorENS3_11ColumnMajorENS_5TupleIJEEES4_fffffS7_fNS_16tensor_operation12element_wise11PassThroughESA_SA_LNS_25InMemoryDataOperationEnumE0ELNS8_6device18GemmSpecializationE0ELi1ELi256ELi128ELi128ELi32ELi8ELi8ELi16ELi16ELi4ELi2ENS_8SequenceIJLi4ELi8ELi8EEEENSE_IJLi1ELi0ELi2EEEELi2ELi1ELi1ESF_SG_Li2ELi1ELi1ELi2ELi2ENSE_IJLi1ELi8ELi1ELi8EEEELi4ELNS_13LoopSchedulerE0ELNS_15PipelineVersionE2EfEEffS7_fSA_SA_SA_NS_16TensorDescriptorINS6_IJNS_5EmbedINS6_IJiiEEENS6_IJiNS_17integral_constantIiLi1EEEEEELb0EEENS_11PassThroughIiEEST_NS_7UnMergeINS6_IJiNSO_IiLi8EEEEEELb0EEEST_EEENS6_IJNSE_IJLi0EEEENSE_IJLi1EEEENSE_IJLi2EEEENSE_IJLi4EEEENSE_IJLi3EEEEEEENS6_IJNSE_IJLi1ELi2EEEES13_S12_NSE_IJLi5ELi6EEEENSE_IJLi7EEEEEEENSE_IJLi5ELi7ELi6EEEElEES1A_S7_NSL_INS6_IJSR_ST_ST_NSU_INS6_IJiNSO_IiLi128EEEEEELb0EEES1D_EEENS6_IJSZ_S10_S11_S13_S12_EEENS6_IJS15_S13_S12_S16_NSE_IJLi7ELi8EEEEEEENSE_IJLi5ELi6ELi7ELi8EEEElEENS_31BlockToCTileMap_M00_N0_M01AdaptILi128ELi128ENSL_INS6_IJSR_ST_ST_EEENS6_IJSZ_S10_S11_EEENS6_IJS15_S13_S12_EEENSE_IJLi3ELi4EEEElEEiEELb1ELi2EEEvPKT0_PKT1_T2_PT3_T4_T5_T6_T7_T8_T9_T10_T11_.num_named_barrier, 0
	.set _ZN2ck51kernel_gemm_multiple_d_xdl_cshuffle_lds_direct_loadINS_48GridwiseGemmMultipleD_Xdl_CShuffle_LdsDirectLoadINS_13tensor_layout4gemm8RowMajorENS3_11ColumnMajorENS_5TupleIJEEES4_fffffS7_fNS_16tensor_operation12element_wise11PassThroughESA_SA_LNS_25InMemoryDataOperationEnumE0ELNS8_6device18GemmSpecializationE0ELi1ELi256ELi128ELi128ELi32ELi8ELi8ELi16ELi16ELi4ELi2ENS_8SequenceIJLi4ELi8ELi8EEEENSE_IJLi1ELi0ELi2EEEELi2ELi1ELi1ESF_SG_Li2ELi1ELi1ELi2ELi2ENSE_IJLi1ELi8ELi1ELi8EEEELi4ELNS_13LoopSchedulerE0ELNS_15PipelineVersionE2EfEEffS7_fSA_SA_SA_NS_16TensorDescriptorINS6_IJNS_5EmbedINS6_IJiiEEENS6_IJiNS_17integral_constantIiLi1EEEEEELb0EEENS_11PassThroughIiEEST_NS_7UnMergeINS6_IJiNSO_IiLi8EEEEEELb0EEEST_EEENS6_IJNSE_IJLi0EEEENSE_IJLi1EEEENSE_IJLi2EEEENSE_IJLi4EEEENSE_IJLi3EEEEEEENS6_IJNSE_IJLi1ELi2EEEES13_S12_NSE_IJLi5ELi6EEEENSE_IJLi7EEEEEEENSE_IJLi5ELi7ELi6EEEElEES1A_S7_NSL_INS6_IJSR_ST_ST_NSU_INS6_IJiNSO_IiLi128EEEEEELb0EEES1D_EEENS6_IJSZ_S10_S11_S13_S12_EEENS6_IJS15_S13_S12_S16_NSE_IJLi7ELi8EEEEEEENSE_IJLi5ELi6ELi7ELi8EEEElEENS_31BlockToCTileMap_M00_N0_M01AdaptILi128ELi128ENSL_INS6_IJSR_ST_ST_EEENS6_IJSZ_S10_S11_EEENS6_IJS15_S13_S12_EEENSE_IJLi3ELi4EEEElEEiEELb1ELi2EEEvPKT0_PKT1_T2_PT3_T4_T5_T6_T7_T8_T9_T10_T11_.private_seg_size, 0
	.set _ZN2ck51kernel_gemm_multiple_d_xdl_cshuffle_lds_direct_loadINS_48GridwiseGemmMultipleD_Xdl_CShuffle_LdsDirectLoadINS_13tensor_layout4gemm8RowMajorENS3_11ColumnMajorENS_5TupleIJEEES4_fffffS7_fNS_16tensor_operation12element_wise11PassThroughESA_SA_LNS_25InMemoryDataOperationEnumE0ELNS8_6device18GemmSpecializationE0ELi1ELi256ELi128ELi128ELi32ELi8ELi8ELi16ELi16ELi4ELi2ENS_8SequenceIJLi4ELi8ELi8EEEENSE_IJLi1ELi0ELi2EEEELi2ELi1ELi1ESF_SG_Li2ELi1ELi1ELi2ELi2ENSE_IJLi1ELi8ELi1ELi8EEEELi4ELNS_13LoopSchedulerE0ELNS_15PipelineVersionE2EfEEffS7_fSA_SA_SA_NS_16TensorDescriptorINS6_IJNS_5EmbedINS6_IJiiEEENS6_IJiNS_17integral_constantIiLi1EEEEEELb0EEENS_11PassThroughIiEEST_NS_7UnMergeINS6_IJiNSO_IiLi8EEEEEELb0EEEST_EEENS6_IJNSE_IJLi0EEEENSE_IJLi1EEEENSE_IJLi2EEEENSE_IJLi4EEEENSE_IJLi3EEEEEEENS6_IJNSE_IJLi1ELi2EEEES13_S12_NSE_IJLi5ELi6EEEENSE_IJLi7EEEEEEENSE_IJLi5ELi7ELi6EEEElEES1A_S7_NSL_INS6_IJSR_ST_ST_NSU_INS6_IJiNSO_IiLi128EEEEEELb0EEES1D_EEENS6_IJSZ_S10_S11_S13_S12_EEENS6_IJS15_S13_S12_S16_NSE_IJLi7ELi8EEEEEEENSE_IJLi5ELi6ELi7ELi8EEEElEENS_31BlockToCTileMap_M00_N0_M01AdaptILi128ELi128ENSL_INS6_IJSR_ST_ST_EEENS6_IJSZ_S10_S11_EEENS6_IJS15_S13_S12_EEENSE_IJLi3ELi4EEEElEEiEELb1ELi2EEEvPKT0_PKT1_T2_PT3_T4_T5_T6_T7_T8_T9_T10_T11_.uses_vcc, 0
	.set _ZN2ck51kernel_gemm_multiple_d_xdl_cshuffle_lds_direct_loadINS_48GridwiseGemmMultipleD_Xdl_CShuffle_LdsDirectLoadINS_13tensor_layout4gemm8RowMajorENS3_11ColumnMajorENS_5TupleIJEEES4_fffffS7_fNS_16tensor_operation12element_wise11PassThroughESA_SA_LNS_25InMemoryDataOperationEnumE0ELNS8_6device18GemmSpecializationE0ELi1ELi256ELi128ELi128ELi32ELi8ELi8ELi16ELi16ELi4ELi2ENS_8SequenceIJLi4ELi8ELi8EEEENSE_IJLi1ELi0ELi2EEEELi2ELi1ELi1ESF_SG_Li2ELi1ELi1ELi2ELi2ENSE_IJLi1ELi8ELi1ELi8EEEELi4ELNS_13LoopSchedulerE0ELNS_15PipelineVersionE2EfEEffS7_fSA_SA_SA_NS_16TensorDescriptorINS6_IJNS_5EmbedINS6_IJiiEEENS6_IJiNS_17integral_constantIiLi1EEEEEELb0EEENS_11PassThroughIiEEST_NS_7UnMergeINS6_IJiNSO_IiLi8EEEEEELb0EEEST_EEENS6_IJNSE_IJLi0EEEENSE_IJLi1EEEENSE_IJLi2EEEENSE_IJLi4EEEENSE_IJLi3EEEEEEENS6_IJNSE_IJLi1ELi2EEEES13_S12_NSE_IJLi5ELi6EEEENSE_IJLi7EEEEEEENSE_IJLi5ELi7ELi6EEEElEES1A_S7_NSL_INS6_IJSR_ST_ST_NSU_INS6_IJiNSO_IiLi128EEEEEELb0EEES1D_EEENS6_IJSZ_S10_S11_S13_S12_EEENS6_IJS15_S13_S12_S16_NSE_IJLi7ELi8EEEEEEENSE_IJLi5ELi6ELi7ELi8EEEElEENS_31BlockToCTileMap_M00_N0_M01AdaptILi128ELi128ENSL_INS6_IJSR_ST_ST_EEENS6_IJSZ_S10_S11_EEENS6_IJS15_S13_S12_EEENSE_IJLi3ELi4EEEElEEiEELb1ELi2EEEvPKT0_PKT1_T2_PT3_T4_T5_T6_T7_T8_T9_T10_T11_.uses_flat_scratch, 0
	.set _ZN2ck51kernel_gemm_multiple_d_xdl_cshuffle_lds_direct_loadINS_48GridwiseGemmMultipleD_Xdl_CShuffle_LdsDirectLoadINS_13tensor_layout4gemm8RowMajorENS3_11ColumnMajorENS_5TupleIJEEES4_fffffS7_fNS_16tensor_operation12element_wise11PassThroughESA_SA_LNS_25InMemoryDataOperationEnumE0ELNS8_6device18GemmSpecializationE0ELi1ELi256ELi128ELi128ELi32ELi8ELi8ELi16ELi16ELi4ELi2ENS_8SequenceIJLi4ELi8ELi8EEEENSE_IJLi1ELi0ELi2EEEELi2ELi1ELi1ESF_SG_Li2ELi1ELi1ELi2ELi2ENSE_IJLi1ELi8ELi1ELi8EEEELi4ELNS_13LoopSchedulerE0ELNS_15PipelineVersionE2EfEEffS7_fSA_SA_SA_NS_16TensorDescriptorINS6_IJNS_5EmbedINS6_IJiiEEENS6_IJiNS_17integral_constantIiLi1EEEEEELb0EEENS_11PassThroughIiEEST_NS_7UnMergeINS6_IJiNSO_IiLi8EEEEEELb0EEEST_EEENS6_IJNSE_IJLi0EEEENSE_IJLi1EEEENSE_IJLi2EEEENSE_IJLi4EEEENSE_IJLi3EEEEEEENS6_IJNSE_IJLi1ELi2EEEES13_S12_NSE_IJLi5ELi6EEEENSE_IJLi7EEEEEEENSE_IJLi5ELi7ELi6EEEElEES1A_S7_NSL_INS6_IJSR_ST_ST_NSU_INS6_IJiNSO_IiLi128EEEEEELb0EEES1D_EEENS6_IJSZ_S10_S11_S13_S12_EEENS6_IJS15_S13_S12_S16_NSE_IJLi7ELi8EEEEEEENSE_IJLi5ELi6ELi7ELi8EEEElEENS_31BlockToCTileMap_M00_N0_M01AdaptILi128ELi128ENSL_INS6_IJSR_ST_ST_EEENS6_IJSZ_S10_S11_EEENS6_IJS15_S13_S12_EEENSE_IJLi3ELi4EEEElEEiEELb1ELi2EEEvPKT0_PKT1_T2_PT3_T4_T5_T6_T7_T8_T9_T10_T11_.has_dyn_sized_stack, 0
	.set _ZN2ck51kernel_gemm_multiple_d_xdl_cshuffle_lds_direct_loadINS_48GridwiseGemmMultipleD_Xdl_CShuffle_LdsDirectLoadINS_13tensor_layout4gemm8RowMajorENS3_11ColumnMajorENS_5TupleIJEEES4_fffffS7_fNS_16tensor_operation12element_wise11PassThroughESA_SA_LNS_25InMemoryDataOperationEnumE0ELNS8_6device18GemmSpecializationE0ELi1ELi256ELi128ELi128ELi32ELi8ELi8ELi16ELi16ELi4ELi2ENS_8SequenceIJLi4ELi8ELi8EEEENSE_IJLi1ELi0ELi2EEEELi2ELi1ELi1ESF_SG_Li2ELi1ELi1ELi2ELi2ENSE_IJLi1ELi8ELi1ELi8EEEELi4ELNS_13LoopSchedulerE0ELNS_15PipelineVersionE2EfEEffS7_fSA_SA_SA_NS_16TensorDescriptorINS6_IJNS_5EmbedINS6_IJiiEEENS6_IJiNS_17integral_constantIiLi1EEEEEELb0EEENS_11PassThroughIiEEST_NS_7UnMergeINS6_IJiNSO_IiLi8EEEEEELb0EEEST_EEENS6_IJNSE_IJLi0EEEENSE_IJLi1EEEENSE_IJLi2EEEENSE_IJLi4EEEENSE_IJLi3EEEEEEENS6_IJNSE_IJLi1ELi2EEEES13_S12_NSE_IJLi5ELi6EEEENSE_IJLi7EEEEEEENSE_IJLi5ELi7ELi6EEEElEES1A_S7_NSL_INS6_IJSR_ST_ST_NSU_INS6_IJiNSO_IiLi128EEEEEELb0EEES1D_EEENS6_IJSZ_S10_S11_S13_S12_EEENS6_IJS15_S13_S12_S16_NSE_IJLi7ELi8EEEEEEENSE_IJLi5ELi6ELi7ELi8EEEElEENS_31BlockToCTileMap_M00_N0_M01AdaptILi128ELi128ENSL_INS6_IJSR_ST_ST_EEENS6_IJSZ_S10_S11_EEENS6_IJS15_S13_S12_EEENSE_IJLi3ELi4EEEElEEiEELb1ELi2EEEvPKT0_PKT1_T2_PT3_T4_T5_T6_T7_T8_T9_T10_T11_.has_recursion, 0
	.set _ZN2ck51kernel_gemm_multiple_d_xdl_cshuffle_lds_direct_loadINS_48GridwiseGemmMultipleD_Xdl_CShuffle_LdsDirectLoadINS_13tensor_layout4gemm8RowMajorENS3_11ColumnMajorENS_5TupleIJEEES4_fffffS7_fNS_16tensor_operation12element_wise11PassThroughESA_SA_LNS_25InMemoryDataOperationEnumE0ELNS8_6device18GemmSpecializationE0ELi1ELi256ELi128ELi128ELi32ELi8ELi8ELi16ELi16ELi4ELi2ENS_8SequenceIJLi4ELi8ELi8EEEENSE_IJLi1ELi0ELi2EEEELi2ELi1ELi1ESF_SG_Li2ELi1ELi1ELi2ELi2ENSE_IJLi1ELi8ELi1ELi8EEEELi4ELNS_13LoopSchedulerE0ELNS_15PipelineVersionE2EfEEffS7_fSA_SA_SA_NS_16TensorDescriptorINS6_IJNS_5EmbedINS6_IJiiEEENS6_IJiNS_17integral_constantIiLi1EEEEEELb0EEENS_11PassThroughIiEEST_NS_7UnMergeINS6_IJiNSO_IiLi8EEEEEELb0EEEST_EEENS6_IJNSE_IJLi0EEEENSE_IJLi1EEEENSE_IJLi2EEEENSE_IJLi4EEEENSE_IJLi3EEEEEEENS6_IJNSE_IJLi1ELi2EEEES13_S12_NSE_IJLi5ELi6EEEENSE_IJLi7EEEEEEENSE_IJLi5ELi7ELi6EEEElEES1A_S7_NSL_INS6_IJSR_ST_ST_NSU_INS6_IJiNSO_IiLi128EEEEEELb0EEES1D_EEENS6_IJSZ_S10_S11_S13_S12_EEENS6_IJS15_S13_S12_S16_NSE_IJLi7ELi8EEEEEEENSE_IJLi5ELi6ELi7ELi8EEEElEENS_31BlockToCTileMap_M00_N0_M01AdaptILi128ELi128ENSL_INS6_IJSR_ST_ST_EEENS6_IJSZ_S10_S11_EEENS6_IJS15_S13_S12_EEENSE_IJLi3ELi4EEEElEEiEELb1ELi2EEEvPKT0_PKT1_T2_PT3_T4_T5_T6_T7_T8_T9_T10_T11_.has_indirect_call, 0
	.section	.AMDGPU.csdata,"",@progbits
; Kernel info:
; codeLenInByte = 4
; TotalNumSgprs: 6
; NumVgprs: 0
; NumAgprs: 0
; TotalNumVgprs: 0
; ScratchSize: 0
; MemoryBound: 0
; FloatMode: 240
; IeeeMode: 1
; LDSByteSize: 0 bytes/workgroup (compile time only)
; SGPRBlocks: 0
; VGPRBlocks: 0
; NumSGPRsForWavesPerEU: 6
; NumVGPRsForWavesPerEU: 1
; AccumOffset: 4
; Occupancy: 8
; WaveLimiterHint : 0
; COMPUTE_PGM_RSRC2:SCRATCH_EN: 0
; COMPUTE_PGM_RSRC2:USER_SGPR: 2
; COMPUTE_PGM_RSRC2:TRAP_HANDLER: 0
; COMPUTE_PGM_RSRC2:TGID_X_EN: 1
; COMPUTE_PGM_RSRC2:TGID_Y_EN: 0
; COMPUTE_PGM_RSRC2:TGID_Z_EN: 0
; COMPUTE_PGM_RSRC2:TIDIG_COMP_CNT: 0
; COMPUTE_PGM_RSRC3_GFX90A:ACCUM_OFFSET: 0
; COMPUTE_PGM_RSRC3_GFX90A:TG_SPLIT: 0
	.section	.text._ZN2ck51kernel_gemm_multiple_d_xdl_cshuffle_lds_direct_loadINS_48GridwiseGemmMultipleD_Xdl_CShuffle_LdsDirectLoadINS_13tensor_layout4gemm8RowMajorENS3_11ColumnMajorENS_5TupleIJEEES4_fffffS7_fNS_16tensor_operation12element_wise11PassThroughESA_SA_LNS_25InMemoryDataOperationEnumE0ELNS8_6device18GemmSpecializationE0ELi1ELi256ELi128ELi128ELi32ELi8ELi8ELi16ELi16ELi4ELi2ENS_8SequenceIJLi4ELi8ELi8EEEENSE_IJLi1ELi0ELi2EEEELi2ELi1ELi1ESF_SG_Li2ELi1ELi1ELi2ELi2ENSE_IJLi1ELi8ELi1ELi8EEEELi4ELNS_13LoopSchedulerE0ELNS_15PipelineVersionE2EfEEffS7_fSA_SA_SA_NS_16TensorDescriptorINS6_IJNS_5EmbedINS6_IJiiEEENS6_IJiNS_17integral_constantIiLi1EEEEEELb0EEENS_11PassThroughIiEEST_NS_7UnMergeINS6_IJiNSO_IiLi8EEEEEELb0EEEST_EEENS6_IJNSE_IJLi0EEEENSE_IJLi1EEEENSE_IJLi2EEEENSE_IJLi4EEEENSE_IJLi3EEEEEEENS6_IJNSE_IJLi1ELi2EEEES13_S12_NSE_IJLi5ELi6EEEENSE_IJLi7EEEEEEENSE_IJLi5ELi7ELi6EEEElEES1A_S7_NSL_INS6_IJSR_ST_ST_NSU_INS6_IJiNSO_IiLi128EEEEEELb0EEES1D_EEENS6_IJSZ_S10_S11_S13_S12_EEENS6_IJS15_S13_S12_S16_NSE_IJLi7ELi8EEEEEEENSE_IJLi5ELi6ELi7ELi8EEEElEENS_31BlockToCTileMap_M00_N0_M01AdaptILi128ELi128ENSL_INS6_IJSR_ST_ST_EEENS6_IJSZ_S10_S11_EEENS6_IJS15_S13_S12_EEENSE_IJLi3ELi4EEEElEEiEELb0ELi2EEEvPKT0_PKT1_T2_PT3_T4_T5_T6_T7_T8_T9_T10_T11_,"axG",@progbits,_ZN2ck51kernel_gemm_multiple_d_xdl_cshuffle_lds_direct_loadINS_48GridwiseGemmMultipleD_Xdl_CShuffle_LdsDirectLoadINS_13tensor_layout4gemm8RowMajorENS3_11ColumnMajorENS_5TupleIJEEES4_fffffS7_fNS_16tensor_operation12element_wise11PassThroughESA_SA_LNS_25InMemoryDataOperationEnumE0ELNS8_6device18GemmSpecializationE0ELi1ELi256ELi128ELi128ELi32ELi8ELi8ELi16ELi16ELi4ELi2ENS_8SequenceIJLi4ELi8ELi8EEEENSE_IJLi1ELi0ELi2EEEELi2ELi1ELi1ESF_SG_Li2ELi1ELi1ELi2ELi2ENSE_IJLi1ELi8ELi1ELi8EEEELi4ELNS_13LoopSchedulerE0ELNS_15PipelineVersionE2EfEEffS7_fSA_SA_SA_NS_16TensorDescriptorINS6_IJNS_5EmbedINS6_IJiiEEENS6_IJiNS_17integral_constantIiLi1EEEEEELb0EEENS_11PassThroughIiEEST_NS_7UnMergeINS6_IJiNSO_IiLi8EEEEEELb0EEEST_EEENS6_IJNSE_IJLi0EEEENSE_IJLi1EEEENSE_IJLi2EEEENSE_IJLi4EEEENSE_IJLi3EEEEEEENS6_IJNSE_IJLi1ELi2EEEES13_S12_NSE_IJLi5ELi6EEEENSE_IJLi7EEEEEEENSE_IJLi5ELi7ELi6EEEElEES1A_S7_NSL_INS6_IJSR_ST_ST_NSU_INS6_IJiNSO_IiLi128EEEEEELb0EEES1D_EEENS6_IJSZ_S10_S11_S13_S12_EEENS6_IJS15_S13_S12_S16_NSE_IJLi7ELi8EEEEEEENSE_IJLi5ELi6ELi7ELi8EEEElEENS_31BlockToCTileMap_M00_N0_M01AdaptILi128ELi128ENSL_INS6_IJSR_ST_ST_EEENS6_IJSZ_S10_S11_EEENS6_IJS15_S13_S12_EEENSE_IJLi3ELi4EEEElEEiEELb0ELi2EEEvPKT0_PKT1_T2_PT3_T4_T5_T6_T7_T8_T9_T10_T11_,comdat
	.protected	_ZN2ck51kernel_gemm_multiple_d_xdl_cshuffle_lds_direct_loadINS_48GridwiseGemmMultipleD_Xdl_CShuffle_LdsDirectLoadINS_13tensor_layout4gemm8RowMajorENS3_11ColumnMajorENS_5TupleIJEEES4_fffffS7_fNS_16tensor_operation12element_wise11PassThroughESA_SA_LNS_25InMemoryDataOperationEnumE0ELNS8_6device18GemmSpecializationE0ELi1ELi256ELi128ELi128ELi32ELi8ELi8ELi16ELi16ELi4ELi2ENS_8SequenceIJLi4ELi8ELi8EEEENSE_IJLi1ELi0ELi2EEEELi2ELi1ELi1ESF_SG_Li2ELi1ELi1ELi2ELi2ENSE_IJLi1ELi8ELi1ELi8EEEELi4ELNS_13LoopSchedulerE0ELNS_15PipelineVersionE2EfEEffS7_fSA_SA_SA_NS_16TensorDescriptorINS6_IJNS_5EmbedINS6_IJiiEEENS6_IJiNS_17integral_constantIiLi1EEEEEELb0EEENS_11PassThroughIiEEST_NS_7UnMergeINS6_IJiNSO_IiLi8EEEEEELb0EEEST_EEENS6_IJNSE_IJLi0EEEENSE_IJLi1EEEENSE_IJLi2EEEENSE_IJLi4EEEENSE_IJLi3EEEEEEENS6_IJNSE_IJLi1ELi2EEEES13_S12_NSE_IJLi5ELi6EEEENSE_IJLi7EEEEEEENSE_IJLi5ELi7ELi6EEEElEES1A_S7_NSL_INS6_IJSR_ST_ST_NSU_INS6_IJiNSO_IiLi128EEEEEELb0EEES1D_EEENS6_IJSZ_S10_S11_S13_S12_EEENS6_IJS15_S13_S12_S16_NSE_IJLi7ELi8EEEEEEENSE_IJLi5ELi6ELi7ELi8EEEElEENS_31BlockToCTileMap_M00_N0_M01AdaptILi128ELi128ENSL_INS6_IJSR_ST_ST_EEENS6_IJSZ_S10_S11_EEENS6_IJS15_S13_S12_EEENSE_IJLi3ELi4EEEElEEiEELb0ELi2EEEvPKT0_PKT1_T2_PT3_T4_T5_T6_T7_T8_T9_T10_T11_ ; -- Begin function _ZN2ck51kernel_gemm_multiple_d_xdl_cshuffle_lds_direct_loadINS_48GridwiseGemmMultipleD_Xdl_CShuffle_LdsDirectLoadINS_13tensor_layout4gemm8RowMajorENS3_11ColumnMajorENS_5TupleIJEEES4_fffffS7_fNS_16tensor_operation12element_wise11PassThroughESA_SA_LNS_25InMemoryDataOperationEnumE0ELNS8_6device18GemmSpecializationE0ELi1ELi256ELi128ELi128ELi32ELi8ELi8ELi16ELi16ELi4ELi2ENS_8SequenceIJLi4ELi8ELi8EEEENSE_IJLi1ELi0ELi2EEEELi2ELi1ELi1ESF_SG_Li2ELi1ELi1ELi2ELi2ENSE_IJLi1ELi8ELi1ELi8EEEELi4ELNS_13LoopSchedulerE0ELNS_15PipelineVersionE2EfEEffS7_fSA_SA_SA_NS_16TensorDescriptorINS6_IJNS_5EmbedINS6_IJiiEEENS6_IJiNS_17integral_constantIiLi1EEEEEELb0EEENS_11PassThroughIiEEST_NS_7UnMergeINS6_IJiNSO_IiLi8EEEEEELb0EEEST_EEENS6_IJNSE_IJLi0EEEENSE_IJLi1EEEENSE_IJLi2EEEENSE_IJLi4EEEENSE_IJLi3EEEEEEENS6_IJNSE_IJLi1ELi2EEEES13_S12_NSE_IJLi5ELi6EEEENSE_IJLi7EEEEEEENSE_IJLi5ELi7ELi6EEEElEES1A_S7_NSL_INS6_IJSR_ST_ST_NSU_INS6_IJiNSO_IiLi128EEEEEELb0EEES1D_EEENS6_IJSZ_S10_S11_S13_S12_EEENS6_IJS15_S13_S12_S16_NSE_IJLi7ELi8EEEEEEENSE_IJLi5ELi6ELi7ELi8EEEElEENS_31BlockToCTileMap_M00_N0_M01AdaptILi128ELi128ENSL_INS6_IJSR_ST_ST_EEENS6_IJSZ_S10_S11_EEENS6_IJS15_S13_S12_EEENSE_IJLi3ELi4EEEElEEiEELb0ELi2EEEvPKT0_PKT1_T2_PT3_T4_T5_T6_T7_T8_T9_T10_T11_
	.globl	_ZN2ck51kernel_gemm_multiple_d_xdl_cshuffle_lds_direct_loadINS_48GridwiseGemmMultipleD_Xdl_CShuffle_LdsDirectLoadINS_13tensor_layout4gemm8RowMajorENS3_11ColumnMajorENS_5TupleIJEEES4_fffffS7_fNS_16tensor_operation12element_wise11PassThroughESA_SA_LNS_25InMemoryDataOperationEnumE0ELNS8_6device18GemmSpecializationE0ELi1ELi256ELi128ELi128ELi32ELi8ELi8ELi16ELi16ELi4ELi2ENS_8SequenceIJLi4ELi8ELi8EEEENSE_IJLi1ELi0ELi2EEEELi2ELi1ELi1ESF_SG_Li2ELi1ELi1ELi2ELi2ENSE_IJLi1ELi8ELi1ELi8EEEELi4ELNS_13LoopSchedulerE0ELNS_15PipelineVersionE2EfEEffS7_fSA_SA_SA_NS_16TensorDescriptorINS6_IJNS_5EmbedINS6_IJiiEEENS6_IJiNS_17integral_constantIiLi1EEEEEELb0EEENS_11PassThroughIiEEST_NS_7UnMergeINS6_IJiNSO_IiLi8EEEEEELb0EEEST_EEENS6_IJNSE_IJLi0EEEENSE_IJLi1EEEENSE_IJLi2EEEENSE_IJLi4EEEENSE_IJLi3EEEEEEENS6_IJNSE_IJLi1ELi2EEEES13_S12_NSE_IJLi5ELi6EEEENSE_IJLi7EEEEEEENSE_IJLi5ELi7ELi6EEEElEES1A_S7_NSL_INS6_IJSR_ST_ST_NSU_INS6_IJiNSO_IiLi128EEEEEELb0EEES1D_EEENS6_IJSZ_S10_S11_S13_S12_EEENS6_IJS15_S13_S12_S16_NSE_IJLi7ELi8EEEEEEENSE_IJLi5ELi6ELi7ELi8EEEElEENS_31BlockToCTileMap_M00_N0_M01AdaptILi128ELi128ENSL_INS6_IJSR_ST_ST_EEENS6_IJSZ_S10_S11_EEENS6_IJS15_S13_S12_EEENSE_IJLi3ELi4EEEElEEiEELb0ELi2EEEvPKT0_PKT1_T2_PT3_T4_T5_T6_T7_T8_T9_T10_T11_
	.p2align	8
	.type	_ZN2ck51kernel_gemm_multiple_d_xdl_cshuffle_lds_direct_loadINS_48GridwiseGemmMultipleD_Xdl_CShuffle_LdsDirectLoadINS_13tensor_layout4gemm8RowMajorENS3_11ColumnMajorENS_5TupleIJEEES4_fffffS7_fNS_16tensor_operation12element_wise11PassThroughESA_SA_LNS_25InMemoryDataOperationEnumE0ELNS8_6device18GemmSpecializationE0ELi1ELi256ELi128ELi128ELi32ELi8ELi8ELi16ELi16ELi4ELi2ENS_8SequenceIJLi4ELi8ELi8EEEENSE_IJLi1ELi0ELi2EEEELi2ELi1ELi1ESF_SG_Li2ELi1ELi1ELi2ELi2ENSE_IJLi1ELi8ELi1ELi8EEEELi4ELNS_13LoopSchedulerE0ELNS_15PipelineVersionE2EfEEffS7_fSA_SA_SA_NS_16TensorDescriptorINS6_IJNS_5EmbedINS6_IJiiEEENS6_IJiNS_17integral_constantIiLi1EEEEEELb0EEENS_11PassThroughIiEEST_NS_7UnMergeINS6_IJiNSO_IiLi8EEEEEELb0EEEST_EEENS6_IJNSE_IJLi0EEEENSE_IJLi1EEEENSE_IJLi2EEEENSE_IJLi4EEEENSE_IJLi3EEEEEEENS6_IJNSE_IJLi1ELi2EEEES13_S12_NSE_IJLi5ELi6EEEENSE_IJLi7EEEEEEENSE_IJLi5ELi7ELi6EEEElEES1A_S7_NSL_INS6_IJSR_ST_ST_NSU_INS6_IJiNSO_IiLi128EEEEEELb0EEES1D_EEENS6_IJSZ_S10_S11_S13_S12_EEENS6_IJS15_S13_S12_S16_NSE_IJLi7ELi8EEEEEEENSE_IJLi5ELi6ELi7ELi8EEEElEENS_31BlockToCTileMap_M00_N0_M01AdaptILi128ELi128ENSL_INS6_IJSR_ST_ST_EEENS6_IJSZ_S10_S11_EEENS6_IJS15_S13_S12_EEENSE_IJLi3ELi4EEEElEEiEELb0ELi2EEEvPKT0_PKT1_T2_PT3_T4_T5_T6_T7_T8_T9_T10_T11_,@function
_ZN2ck51kernel_gemm_multiple_d_xdl_cshuffle_lds_direct_loadINS_48GridwiseGemmMultipleD_Xdl_CShuffle_LdsDirectLoadINS_13tensor_layout4gemm8RowMajorENS3_11ColumnMajorENS_5TupleIJEEES4_fffffS7_fNS_16tensor_operation12element_wise11PassThroughESA_SA_LNS_25InMemoryDataOperationEnumE0ELNS8_6device18GemmSpecializationE0ELi1ELi256ELi128ELi128ELi32ELi8ELi8ELi16ELi16ELi4ELi2ENS_8SequenceIJLi4ELi8ELi8EEEENSE_IJLi1ELi0ELi2EEEELi2ELi1ELi1ESF_SG_Li2ELi1ELi1ELi2ELi2ENSE_IJLi1ELi8ELi1ELi8EEEELi4ELNS_13LoopSchedulerE0ELNS_15PipelineVersionE2EfEEffS7_fSA_SA_SA_NS_16TensorDescriptorINS6_IJNS_5EmbedINS6_IJiiEEENS6_IJiNS_17integral_constantIiLi1EEEEEELb0EEENS_11PassThroughIiEEST_NS_7UnMergeINS6_IJiNSO_IiLi8EEEEEELb0EEEST_EEENS6_IJNSE_IJLi0EEEENSE_IJLi1EEEENSE_IJLi2EEEENSE_IJLi4EEEENSE_IJLi3EEEEEEENS6_IJNSE_IJLi1ELi2EEEES13_S12_NSE_IJLi5ELi6EEEENSE_IJLi7EEEEEEENSE_IJLi5ELi7ELi6EEEElEES1A_S7_NSL_INS6_IJSR_ST_ST_NSU_INS6_IJiNSO_IiLi128EEEEEELb0EEES1D_EEENS6_IJSZ_S10_S11_S13_S12_EEENS6_IJS15_S13_S12_S16_NSE_IJLi7ELi8EEEEEEENSE_IJLi5ELi6ELi7ELi8EEEElEENS_31BlockToCTileMap_M00_N0_M01AdaptILi128ELi128ENSL_INS6_IJSR_ST_ST_EEENS6_IJSZ_S10_S11_EEENS6_IJS15_S13_S12_EEENSE_IJLi3ELi4EEEElEEiEELb0ELi2EEEvPKT0_PKT1_T2_PT3_T4_T5_T6_T7_T8_T9_T10_T11_: ; @_ZN2ck51kernel_gemm_multiple_d_xdl_cshuffle_lds_direct_loadINS_48GridwiseGemmMultipleD_Xdl_CShuffle_LdsDirectLoadINS_13tensor_layout4gemm8RowMajorENS3_11ColumnMajorENS_5TupleIJEEES4_fffffS7_fNS_16tensor_operation12element_wise11PassThroughESA_SA_LNS_25InMemoryDataOperationEnumE0ELNS8_6device18GemmSpecializationE0ELi1ELi256ELi128ELi128ELi32ELi8ELi8ELi16ELi16ELi4ELi2ENS_8SequenceIJLi4ELi8ELi8EEEENSE_IJLi1ELi0ELi2EEEELi2ELi1ELi1ESF_SG_Li2ELi1ELi1ELi2ELi2ENSE_IJLi1ELi8ELi1ELi8EEEELi4ELNS_13LoopSchedulerE0ELNS_15PipelineVersionE2EfEEffS7_fSA_SA_SA_NS_16TensorDescriptorINS6_IJNS_5EmbedINS6_IJiiEEENS6_IJiNS_17integral_constantIiLi1EEEEEELb0EEENS_11PassThroughIiEEST_NS_7UnMergeINS6_IJiNSO_IiLi8EEEEEELb0EEEST_EEENS6_IJNSE_IJLi0EEEENSE_IJLi1EEEENSE_IJLi2EEEENSE_IJLi4EEEENSE_IJLi3EEEEEEENS6_IJNSE_IJLi1ELi2EEEES13_S12_NSE_IJLi5ELi6EEEENSE_IJLi7EEEEEEENSE_IJLi5ELi7ELi6EEEElEES1A_S7_NSL_INS6_IJSR_ST_ST_NSU_INS6_IJiNSO_IiLi128EEEEEELb0EEES1D_EEENS6_IJSZ_S10_S11_S13_S12_EEENS6_IJS15_S13_S12_S16_NSE_IJLi7ELi8EEEEEEENSE_IJLi5ELi6ELi7ELi8EEEElEENS_31BlockToCTileMap_M00_N0_M01AdaptILi128ELi128ENSL_INS6_IJSR_ST_ST_EEENS6_IJSZ_S10_S11_EEENS6_IJS15_S13_S12_EEENSE_IJLi3ELi4EEEElEEiEELb0ELi2EEEvPKT0_PKT1_T2_PT3_T4_T5_T6_T7_T8_T9_T10_T11_
; %bb.0:
	s_endpgm
	.section	.rodata,"a",@progbits
	.p2align	6, 0x0
	.amdhsa_kernel _ZN2ck51kernel_gemm_multiple_d_xdl_cshuffle_lds_direct_loadINS_48GridwiseGemmMultipleD_Xdl_CShuffle_LdsDirectLoadINS_13tensor_layout4gemm8RowMajorENS3_11ColumnMajorENS_5TupleIJEEES4_fffffS7_fNS_16tensor_operation12element_wise11PassThroughESA_SA_LNS_25InMemoryDataOperationEnumE0ELNS8_6device18GemmSpecializationE0ELi1ELi256ELi128ELi128ELi32ELi8ELi8ELi16ELi16ELi4ELi2ENS_8SequenceIJLi4ELi8ELi8EEEENSE_IJLi1ELi0ELi2EEEELi2ELi1ELi1ESF_SG_Li2ELi1ELi1ELi2ELi2ENSE_IJLi1ELi8ELi1ELi8EEEELi4ELNS_13LoopSchedulerE0ELNS_15PipelineVersionE2EfEEffS7_fSA_SA_SA_NS_16TensorDescriptorINS6_IJNS_5EmbedINS6_IJiiEEENS6_IJiNS_17integral_constantIiLi1EEEEEELb0EEENS_11PassThroughIiEEST_NS_7UnMergeINS6_IJiNSO_IiLi8EEEEEELb0EEEST_EEENS6_IJNSE_IJLi0EEEENSE_IJLi1EEEENSE_IJLi2EEEENSE_IJLi4EEEENSE_IJLi3EEEEEEENS6_IJNSE_IJLi1ELi2EEEES13_S12_NSE_IJLi5ELi6EEEENSE_IJLi7EEEEEEENSE_IJLi5ELi7ELi6EEEElEES1A_S7_NSL_INS6_IJSR_ST_ST_NSU_INS6_IJiNSO_IiLi128EEEEEELb0EEES1D_EEENS6_IJSZ_S10_S11_S13_S12_EEENS6_IJS15_S13_S12_S16_NSE_IJLi7ELi8EEEEEEENSE_IJLi5ELi6ELi7ELi8EEEElEENS_31BlockToCTileMap_M00_N0_M01AdaptILi128ELi128ENSL_INS6_IJSR_ST_ST_EEENS6_IJSZ_S10_S11_EEENS6_IJS15_S13_S12_EEENSE_IJLi3ELi4EEEElEEiEELb0ELi2EEEvPKT0_PKT1_T2_PT3_T4_T5_T6_T7_T8_T9_T10_T11_
		.amdhsa_group_segment_fixed_size 0
		.amdhsa_private_segment_fixed_size 0
		.amdhsa_kernarg_size 236
		.amdhsa_user_sgpr_count 2
		.amdhsa_user_sgpr_dispatch_ptr 0
		.amdhsa_user_sgpr_queue_ptr 0
		.amdhsa_user_sgpr_kernarg_segment_ptr 1
		.amdhsa_user_sgpr_dispatch_id 0
		.amdhsa_user_sgpr_kernarg_preload_length 0
		.amdhsa_user_sgpr_kernarg_preload_offset 0
		.amdhsa_user_sgpr_private_segment_size 0
		.amdhsa_uses_dynamic_stack 0
		.amdhsa_enable_private_segment 0
		.amdhsa_system_sgpr_workgroup_id_x 1
		.amdhsa_system_sgpr_workgroup_id_y 0
		.amdhsa_system_sgpr_workgroup_id_z 0
		.amdhsa_system_sgpr_workgroup_info 0
		.amdhsa_system_vgpr_workitem_id 0
		.amdhsa_next_free_vgpr 1
		.amdhsa_next_free_sgpr 0
		.amdhsa_accum_offset 4
		.amdhsa_reserve_vcc 0
		.amdhsa_float_round_mode_32 0
		.amdhsa_float_round_mode_16_64 0
		.amdhsa_float_denorm_mode_32 3
		.amdhsa_float_denorm_mode_16_64 3
		.amdhsa_dx10_clamp 1
		.amdhsa_ieee_mode 1
		.amdhsa_fp16_overflow 0
		.amdhsa_tg_split 0
		.amdhsa_exception_fp_ieee_invalid_op 0
		.amdhsa_exception_fp_denorm_src 0
		.amdhsa_exception_fp_ieee_div_zero 0
		.amdhsa_exception_fp_ieee_overflow 0
		.amdhsa_exception_fp_ieee_underflow 0
		.amdhsa_exception_fp_ieee_inexact 0
		.amdhsa_exception_int_div_zero 0
	.end_amdhsa_kernel
	.section	.text._ZN2ck51kernel_gemm_multiple_d_xdl_cshuffle_lds_direct_loadINS_48GridwiseGemmMultipleD_Xdl_CShuffle_LdsDirectLoadINS_13tensor_layout4gemm8RowMajorENS3_11ColumnMajorENS_5TupleIJEEES4_fffffS7_fNS_16tensor_operation12element_wise11PassThroughESA_SA_LNS_25InMemoryDataOperationEnumE0ELNS8_6device18GemmSpecializationE0ELi1ELi256ELi128ELi128ELi32ELi8ELi8ELi16ELi16ELi4ELi2ENS_8SequenceIJLi4ELi8ELi8EEEENSE_IJLi1ELi0ELi2EEEELi2ELi1ELi1ESF_SG_Li2ELi1ELi1ELi2ELi2ENSE_IJLi1ELi8ELi1ELi8EEEELi4ELNS_13LoopSchedulerE0ELNS_15PipelineVersionE2EfEEffS7_fSA_SA_SA_NS_16TensorDescriptorINS6_IJNS_5EmbedINS6_IJiiEEENS6_IJiNS_17integral_constantIiLi1EEEEEELb0EEENS_11PassThroughIiEEST_NS_7UnMergeINS6_IJiNSO_IiLi8EEEEEELb0EEEST_EEENS6_IJNSE_IJLi0EEEENSE_IJLi1EEEENSE_IJLi2EEEENSE_IJLi4EEEENSE_IJLi3EEEEEEENS6_IJNSE_IJLi1ELi2EEEES13_S12_NSE_IJLi5ELi6EEEENSE_IJLi7EEEEEEENSE_IJLi5ELi7ELi6EEEElEES1A_S7_NSL_INS6_IJSR_ST_ST_NSU_INS6_IJiNSO_IiLi128EEEEEELb0EEES1D_EEENS6_IJSZ_S10_S11_S13_S12_EEENS6_IJS15_S13_S12_S16_NSE_IJLi7ELi8EEEEEEENSE_IJLi5ELi6ELi7ELi8EEEElEENS_31BlockToCTileMap_M00_N0_M01AdaptILi128ELi128ENSL_INS6_IJSR_ST_ST_EEENS6_IJSZ_S10_S11_EEENS6_IJS15_S13_S12_EEENSE_IJLi3ELi4EEEElEEiEELb0ELi2EEEvPKT0_PKT1_T2_PT3_T4_T5_T6_T7_T8_T9_T10_T11_,"axG",@progbits,_ZN2ck51kernel_gemm_multiple_d_xdl_cshuffle_lds_direct_loadINS_48GridwiseGemmMultipleD_Xdl_CShuffle_LdsDirectLoadINS_13tensor_layout4gemm8RowMajorENS3_11ColumnMajorENS_5TupleIJEEES4_fffffS7_fNS_16tensor_operation12element_wise11PassThroughESA_SA_LNS_25InMemoryDataOperationEnumE0ELNS8_6device18GemmSpecializationE0ELi1ELi256ELi128ELi128ELi32ELi8ELi8ELi16ELi16ELi4ELi2ENS_8SequenceIJLi4ELi8ELi8EEEENSE_IJLi1ELi0ELi2EEEELi2ELi1ELi1ESF_SG_Li2ELi1ELi1ELi2ELi2ENSE_IJLi1ELi8ELi1ELi8EEEELi4ELNS_13LoopSchedulerE0ELNS_15PipelineVersionE2EfEEffS7_fSA_SA_SA_NS_16TensorDescriptorINS6_IJNS_5EmbedINS6_IJiiEEENS6_IJiNS_17integral_constantIiLi1EEEEEELb0EEENS_11PassThroughIiEEST_NS_7UnMergeINS6_IJiNSO_IiLi8EEEEEELb0EEEST_EEENS6_IJNSE_IJLi0EEEENSE_IJLi1EEEENSE_IJLi2EEEENSE_IJLi4EEEENSE_IJLi3EEEEEEENS6_IJNSE_IJLi1ELi2EEEES13_S12_NSE_IJLi5ELi6EEEENSE_IJLi7EEEEEEENSE_IJLi5ELi7ELi6EEEElEES1A_S7_NSL_INS6_IJSR_ST_ST_NSU_INS6_IJiNSO_IiLi128EEEEEELb0EEES1D_EEENS6_IJSZ_S10_S11_S13_S12_EEENS6_IJS15_S13_S12_S16_NSE_IJLi7ELi8EEEEEEENSE_IJLi5ELi6ELi7ELi8EEEElEENS_31BlockToCTileMap_M00_N0_M01AdaptILi128ELi128ENSL_INS6_IJSR_ST_ST_EEENS6_IJSZ_S10_S11_EEENS6_IJS15_S13_S12_EEENSE_IJLi3ELi4EEEElEEiEELb0ELi2EEEvPKT0_PKT1_T2_PT3_T4_T5_T6_T7_T8_T9_T10_T11_,comdat
.Lfunc_end4:
	.size	_ZN2ck51kernel_gemm_multiple_d_xdl_cshuffle_lds_direct_loadINS_48GridwiseGemmMultipleD_Xdl_CShuffle_LdsDirectLoadINS_13tensor_layout4gemm8RowMajorENS3_11ColumnMajorENS_5TupleIJEEES4_fffffS7_fNS_16tensor_operation12element_wise11PassThroughESA_SA_LNS_25InMemoryDataOperationEnumE0ELNS8_6device18GemmSpecializationE0ELi1ELi256ELi128ELi128ELi32ELi8ELi8ELi16ELi16ELi4ELi2ENS_8SequenceIJLi4ELi8ELi8EEEENSE_IJLi1ELi0ELi2EEEELi2ELi1ELi1ESF_SG_Li2ELi1ELi1ELi2ELi2ENSE_IJLi1ELi8ELi1ELi8EEEELi4ELNS_13LoopSchedulerE0ELNS_15PipelineVersionE2EfEEffS7_fSA_SA_SA_NS_16TensorDescriptorINS6_IJNS_5EmbedINS6_IJiiEEENS6_IJiNS_17integral_constantIiLi1EEEEEELb0EEENS_11PassThroughIiEEST_NS_7UnMergeINS6_IJiNSO_IiLi8EEEEEELb0EEEST_EEENS6_IJNSE_IJLi0EEEENSE_IJLi1EEEENSE_IJLi2EEEENSE_IJLi4EEEENSE_IJLi3EEEEEEENS6_IJNSE_IJLi1ELi2EEEES13_S12_NSE_IJLi5ELi6EEEENSE_IJLi7EEEEEEENSE_IJLi5ELi7ELi6EEEElEES1A_S7_NSL_INS6_IJSR_ST_ST_NSU_INS6_IJiNSO_IiLi128EEEEEELb0EEES1D_EEENS6_IJSZ_S10_S11_S13_S12_EEENS6_IJS15_S13_S12_S16_NSE_IJLi7ELi8EEEEEEENSE_IJLi5ELi6ELi7ELi8EEEElEENS_31BlockToCTileMap_M00_N0_M01AdaptILi128ELi128ENSL_INS6_IJSR_ST_ST_EEENS6_IJSZ_S10_S11_EEENS6_IJS15_S13_S12_EEENSE_IJLi3ELi4EEEElEEiEELb0ELi2EEEvPKT0_PKT1_T2_PT3_T4_T5_T6_T7_T8_T9_T10_T11_, .Lfunc_end4-_ZN2ck51kernel_gemm_multiple_d_xdl_cshuffle_lds_direct_loadINS_48GridwiseGemmMultipleD_Xdl_CShuffle_LdsDirectLoadINS_13tensor_layout4gemm8RowMajorENS3_11ColumnMajorENS_5TupleIJEEES4_fffffS7_fNS_16tensor_operation12element_wise11PassThroughESA_SA_LNS_25InMemoryDataOperationEnumE0ELNS8_6device18GemmSpecializationE0ELi1ELi256ELi128ELi128ELi32ELi8ELi8ELi16ELi16ELi4ELi2ENS_8SequenceIJLi4ELi8ELi8EEEENSE_IJLi1ELi0ELi2EEEELi2ELi1ELi1ESF_SG_Li2ELi1ELi1ELi2ELi2ENSE_IJLi1ELi8ELi1ELi8EEEELi4ELNS_13LoopSchedulerE0ELNS_15PipelineVersionE2EfEEffS7_fSA_SA_SA_NS_16TensorDescriptorINS6_IJNS_5EmbedINS6_IJiiEEENS6_IJiNS_17integral_constantIiLi1EEEEEELb0EEENS_11PassThroughIiEEST_NS_7UnMergeINS6_IJiNSO_IiLi8EEEEEELb0EEEST_EEENS6_IJNSE_IJLi0EEEENSE_IJLi1EEEENSE_IJLi2EEEENSE_IJLi4EEEENSE_IJLi3EEEEEEENS6_IJNSE_IJLi1ELi2EEEES13_S12_NSE_IJLi5ELi6EEEENSE_IJLi7EEEEEEENSE_IJLi5ELi7ELi6EEEElEES1A_S7_NSL_INS6_IJSR_ST_ST_NSU_INS6_IJiNSO_IiLi128EEEEEELb0EEES1D_EEENS6_IJSZ_S10_S11_S13_S12_EEENS6_IJS15_S13_S12_S16_NSE_IJLi7ELi8EEEEEEENSE_IJLi5ELi6ELi7ELi8EEEElEENS_31BlockToCTileMap_M00_N0_M01AdaptILi128ELi128ENSL_INS6_IJSR_ST_ST_EEENS6_IJSZ_S10_S11_EEENS6_IJS15_S13_S12_EEENSE_IJLi3ELi4EEEElEEiEELb0ELi2EEEvPKT0_PKT1_T2_PT3_T4_T5_T6_T7_T8_T9_T10_T11_
                                        ; -- End function
	.set _ZN2ck51kernel_gemm_multiple_d_xdl_cshuffle_lds_direct_loadINS_48GridwiseGemmMultipleD_Xdl_CShuffle_LdsDirectLoadINS_13tensor_layout4gemm8RowMajorENS3_11ColumnMajorENS_5TupleIJEEES4_fffffS7_fNS_16tensor_operation12element_wise11PassThroughESA_SA_LNS_25InMemoryDataOperationEnumE0ELNS8_6device18GemmSpecializationE0ELi1ELi256ELi128ELi128ELi32ELi8ELi8ELi16ELi16ELi4ELi2ENS_8SequenceIJLi4ELi8ELi8EEEENSE_IJLi1ELi0ELi2EEEELi2ELi1ELi1ESF_SG_Li2ELi1ELi1ELi2ELi2ENSE_IJLi1ELi8ELi1ELi8EEEELi4ELNS_13LoopSchedulerE0ELNS_15PipelineVersionE2EfEEffS7_fSA_SA_SA_NS_16TensorDescriptorINS6_IJNS_5EmbedINS6_IJiiEEENS6_IJiNS_17integral_constantIiLi1EEEEEELb0EEENS_11PassThroughIiEEST_NS_7UnMergeINS6_IJiNSO_IiLi8EEEEEELb0EEEST_EEENS6_IJNSE_IJLi0EEEENSE_IJLi1EEEENSE_IJLi2EEEENSE_IJLi4EEEENSE_IJLi3EEEEEEENS6_IJNSE_IJLi1ELi2EEEES13_S12_NSE_IJLi5ELi6EEEENSE_IJLi7EEEEEEENSE_IJLi5ELi7ELi6EEEElEES1A_S7_NSL_INS6_IJSR_ST_ST_NSU_INS6_IJiNSO_IiLi128EEEEEELb0EEES1D_EEENS6_IJSZ_S10_S11_S13_S12_EEENS6_IJS15_S13_S12_S16_NSE_IJLi7ELi8EEEEEEENSE_IJLi5ELi6ELi7ELi8EEEElEENS_31BlockToCTileMap_M00_N0_M01AdaptILi128ELi128ENSL_INS6_IJSR_ST_ST_EEENS6_IJSZ_S10_S11_EEENS6_IJS15_S13_S12_EEENSE_IJLi3ELi4EEEElEEiEELb0ELi2EEEvPKT0_PKT1_T2_PT3_T4_T5_T6_T7_T8_T9_T10_T11_.num_vgpr, 0
	.set _ZN2ck51kernel_gemm_multiple_d_xdl_cshuffle_lds_direct_loadINS_48GridwiseGemmMultipleD_Xdl_CShuffle_LdsDirectLoadINS_13tensor_layout4gemm8RowMajorENS3_11ColumnMajorENS_5TupleIJEEES4_fffffS7_fNS_16tensor_operation12element_wise11PassThroughESA_SA_LNS_25InMemoryDataOperationEnumE0ELNS8_6device18GemmSpecializationE0ELi1ELi256ELi128ELi128ELi32ELi8ELi8ELi16ELi16ELi4ELi2ENS_8SequenceIJLi4ELi8ELi8EEEENSE_IJLi1ELi0ELi2EEEELi2ELi1ELi1ESF_SG_Li2ELi1ELi1ELi2ELi2ENSE_IJLi1ELi8ELi1ELi8EEEELi4ELNS_13LoopSchedulerE0ELNS_15PipelineVersionE2EfEEffS7_fSA_SA_SA_NS_16TensorDescriptorINS6_IJNS_5EmbedINS6_IJiiEEENS6_IJiNS_17integral_constantIiLi1EEEEEELb0EEENS_11PassThroughIiEEST_NS_7UnMergeINS6_IJiNSO_IiLi8EEEEEELb0EEEST_EEENS6_IJNSE_IJLi0EEEENSE_IJLi1EEEENSE_IJLi2EEEENSE_IJLi4EEEENSE_IJLi3EEEEEEENS6_IJNSE_IJLi1ELi2EEEES13_S12_NSE_IJLi5ELi6EEEENSE_IJLi7EEEEEEENSE_IJLi5ELi7ELi6EEEElEES1A_S7_NSL_INS6_IJSR_ST_ST_NSU_INS6_IJiNSO_IiLi128EEEEEELb0EEES1D_EEENS6_IJSZ_S10_S11_S13_S12_EEENS6_IJS15_S13_S12_S16_NSE_IJLi7ELi8EEEEEEENSE_IJLi5ELi6ELi7ELi8EEEElEENS_31BlockToCTileMap_M00_N0_M01AdaptILi128ELi128ENSL_INS6_IJSR_ST_ST_EEENS6_IJSZ_S10_S11_EEENS6_IJS15_S13_S12_EEENSE_IJLi3ELi4EEEElEEiEELb0ELi2EEEvPKT0_PKT1_T2_PT3_T4_T5_T6_T7_T8_T9_T10_T11_.num_agpr, 0
	.set _ZN2ck51kernel_gemm_multiple_d_xdl_cshuffle_lds_direct_loadINS_48GridwiseGemmMultipleD_Xdl_CShuffle_LdsDirectLoadINS_13tensor_layout4gemm8RowMajorENS3_11ColumnMajorENS_5TupleIJEEES4_fffffS7_fNS_16tensor_operation12element_wise11PassThroughESA_SA_LNS_25InMemoryDataOperationEnumE0ELNS8_6device18GemmSpecializationE0ELi1ELi256ELi128ELi128ELi32ELi8ELi8ELi16ELi16ELi4ELi2ENS_8SequenceIJLi4ELi8ELi8EEEENSE_IJLi1ELi0ELi2EEEELi2ELi1ELi1ESF_SG_Li2ELi1ELi1ELi2ELi2ENSE_IJLi1ELi8ELi1ELi8EEEELi4ELNS_13LoopSchedulerE0ELNS_15PipelineVersionE2EfEEffS7_fSA_SA_SA_NS_16TensorDescriptorINS6_IJNS_5EmbedINS6_IJiiEEENS6_IJiNS_17integral_constantIiLi1EEEEEELb0EEENS_11PassThroughIiEEST_NS_7UnMergeINS6_IJiNSO_IiLi8EEEEEELb0EEEST_EEENS6_IJNSE_IJLi0EEEENSE_IJLi1EEEENSE_IJLi2EEEENSE_IJLi4EEEENSE_IJLi3EEEEEEENS6_IJNSE_IJLi1ELi2EEEES13_S12_NSE_IJLi5ELi6EEEENSE_IJLi7EEEEEEENSE_IJLi5ELi7ELi6EEEElEES1A_S7_NSL_INS6_IJSR_ST_ST_NSU_INS6_IJiNSO_IiLi128EEEEEELb0EEES1D_EEENS6_IJSZ_S10_S11_S13_S12_EEENS6_IJS15_S13_S12_S16_NSE_IJLi7ELi8EEEEEEENSE_IJLi5ELi6ELi7ELi8EEEElEENS_31BlockToCTileMap_M00_N0_M01AdaptILi128ELi128ENSL_INS6_IJSR_ST_ST_EEENS6_IJSZ_S10_S11_EEENS6_IJS15_S13_S12_EEENSE_IJLi3ELi4EEEElEEiEELb0ELi2EEEvPKT0_PKT1_T2_PT3_T4_T5_T6_T7_T8_T9_T10_T11_.numbered_sgpr, 0
	.set _ZN2ck51kernel_gemm_multiple_d_xdl_cshuffle_lds_direct_loadINS_48GridwiseGemmMultipleD_Xdl_CShuffle_LdsDirectLoadINS_13tensor_layout4gemm8RowMajorENS3_11ColumnMajorENS_5TupleIJEEES4_fffffS7_fNS_16tensor_operation12element_wise11PassThroughESA_SA_LNS_25InMemoryDataOperationEnumE0ELNS8_6device18GemmSpecializationE0ELi1ELi256ELi128ELi128ELi32ELi8ELi8ELi16ELi16ELi4ELi2ENS_8SequenceIJLi4ELi8ELi8EEEENSE_IJLi1ELi0ELi2EEEELi2ELi1ELi1ESF_SG_Li2ELi1ELi1ELi2ELi2ENSE_IJLi1ELi8ELi1ELi8EEEELi4ELNS_13LoopSchedulerE0ELNS_15PipelineVersionE2EfEEffS7_fSA_SA_SA_NS_16TensorDescriptorINS6_IJNS_5EmbedINS6_IJiiEEENS6_IJiNS_17integral_constantIiLi1EEEEEELb0EEENS_11PassThroughIiEEST_NS_7UnMergeINS6_IJiNSO_IiLi8EEEEEELb0EEEST_EEENS6_IJNSE_IJLi0EEEENSE_IJLi1EEEENSE_IJLi2EEEENSE_IJLi4EEEENSE_IJLi3EEEEEEENS6_IJNSE_IJLi1ELi2EEEES13_S12_NSE_IJLi5ELi6EEEENSE_IJLi7EEEEEEENSE_IJLi5ELi7ELi6EEEElEES1A_S7_NSL_INS6_IJSR_ST_ST_NSU_INS6_IJiNSO_IiLi128EEEEEELb0EEES1D_EEENS6_IJSZ_S10_S11_S13_S12_EEENS6_IJS15_S13_S12_S16_NSE_IJLi7ELi8EEEEEEENSE_IJLi5ELi6ELi7ELi8EEEElEENS_31BlockToCTileMap_M00_N0_M01AdaptILi128ELi128ENSL_INS6_IJSR_ST_ST_EEENS6_IJSZ_S10_S11_EEENS6_IJS15_S13_S12_EEENSE_IJLi3ELi4EEEElEEiEELb0ELi2EEEvPKT0_PKT1_T2_PT3_T4_T5_T6_T7_T8_T9_T10_T11_.num_named_barrier, 0
	.set _ZN2ck51kernel_gemm_multiple_d_xdl_cshuffle_lds_direct_loadINS_48GridwiseGemmMultipleD_Xdl_CShuffle_LdsDirectLoadINS_13tensor_layout4gemm8RowMajorENS3_11ColumnMajorENS_5TupleIJEEES4_fffffS7_fNS_16tensor_operation12element_wise11PassThroughESA_SA_LNS_25InMemoryDataOperationEnumE0ELNS8_6device18GemmSpecializationE0ELi1ELi256ELi128ELi128ELi32ELi8ELi8ELi16ELi16ELi4ELi2ENS_8SequenceIJLi4ELi8ELi8EEEENSE_IJLi1ELi0ELi2EEEELi2ELi1ELi1ESF_SG_Li2ELi1ELi1ELi2ELi2ENSE_IJLi1ELi8ELi1ELi8EEEELi4ELNS_13LoopSchedulerE0ELNS_15PipelineVersionE2EfEEffS7_fSA_SA_SA_NS_16TensorDescriptorINS6_IJNS_5EmbedINS6_IJiiEEENS6_IJiNS_17integral_constantIiLi1EEEEEELb0EEENS_11PassThroughIiEEST_NS_7UnMergeINS6_IJiNSO_IiLi8EEEEEELb0EEEST_EEENS6_IJNSE_IJLi0EEEENSE_IJLi1EEEENSE_IJLi2EEEENSE_IJLi4EEEENSE_IJLi3EEEEEEENS6_IJNSE_IJLi1ELi2EEEES13_S12_NSE_IJLi5ELi6EEEENSE_IJLi7EEEEEEENSE_IJLi5ELi7ELi6EEEElEES1A_S7_NSL_INS6_IJSR_ST_ST_NSU_INS6_IJiNSO_IiLi128EEEEEELb0EEES1D_EEENS6_IJSZ_S10_S11_S13_S12_EEENS6_IJS15_S13_S12_S16_NSE_IJLi7ELi8EEEEEEENSE_IJLi5ELi6ELi7ELi8EEEElEENS_31BlockToCTileMap_M00_N0_M01AdaptILi128ELi128ENSL_INS6_IJSR_ST_ST_EEENS6_IJSZ_S10_S11_EEENS6_IJS15_S13_S12_EEENSE_IJLi3ELi4EEEElEEiEELb0ELi2EEEvPKT0_PKT1_T2_PT3_T4_T5_T6_T7_T8_T9_T10_T11_.private_seg_size, 0
	.set _ZN2ck51kernel_gemm_multiple_d_xdl_cshuffle_lds_direct_loadINS_48GridwiseGemmMultipleD_Xdl_CShuffle_LdsDirectLoadINS_13tensor_layout4gemm8RowMajorENS3_11ColumnMajorENS_5TupleIJEEES4_fffffS7_fNS_16tensor_operation12element_wise11PassThroughESA_SA_LNS_25InMemoryDataOperationEnumE0ELNS8_6device18GemmSpecializationE0ELi1ELi256ELi128ELi128ELi32ELi8ELi8ELi16ELi16ELi4ELi2ENS_8SequenceIJLi4ELi8ELi8EEEENSE_IJLi1ELi0ELi2EEEELi2ELi1ELi1ESF_SG_Li2ELi1ELi1ELi2ELi2ENSE_IJLi1ELi8ELi1ELi8EEEELi4ELNS_13LoopSchedulerE0ELNS_15PipelineVersionE2EfEEffS7_fSA_SA_SA_NS_16TensorDescriptorINS6_IJNS_5EmbedINS6_IJiiEEENS6_IJiNS_17integral_constantIiLi1EEEEEELb0EEENS_11PassThroughIiEEST_NS_7UnMergeINS6_IJiNSO_IiLi8EEEEEELb0EEEST_EEENS6_IJNSE_IJLi0EEEENSE_IJLi1EEEENSE_IJLi2EEEENSE_IJLi4EEEENSE_IJLi3EEEEEEENS6_IJNSE_IJLi1ELi2EEEES13_S12_NSE_IJLi5ELi6EEEENSE_IJLi7EEEEEEENSE_IJLi5ELi7ELi6EEEElEES1A_S7_NSL_INS6_IJSR_ST_ST_NSU_INS6_IJiNSO_IiLi128EEEEEELb0EEES1D_EEENS6_IJSZ_S10_S11_S13_S12_EEENS6_IJS15_S13_S12_S16_NSE_IJLi7ELi8EEEEEEENSE_IJLi5ELi6ELi7ELi8EEEElEENS_31BlockToCTileMap_M00_N0_M01AdaptILi128ELi128ENSL_INS6_IJSR_ST_ST_EEENS6_IJSZ_S10_S11_EEENS6_IJS15_S13_S12_EEENSE_IJLi3ELi4EEEElEEiEELb0ELi2EEEvPKT0_PKT1_T2_PT3_T4_T5_T6_T7_T8_T9_T10_T11_.uses_vcc, 0
	.set _ZN2ck51kernel_gemm_multiple_d_xdl_cshuffle_lds_direct_loadINS_48GridwiseGemmMultipleD_Xdl_CShuffle_LdsDirectLoadINS_13tensor_layout4gemm8RowMajorENS3_11ColumnMajorENS_5TupleIJEEES4_fffffS7_fNS_16tensor_operation12element_wise11PassThroughESA_SA_LNS_25InMemoryDataOperationEnumE0ELNS8_6device18GemmSpecializationE0ELi1ELi256ELi128ELi128ELi32ELi8ELi8ELi16ELi16ELi4ELi2ENS_8SequenceIJLi4ELi8ELi8EEEENSE_IJLi1ELi0ELi2EEEELi2ELi1ELi1ESF_SG_Li2ELi1ELi1ELi2ELi2ENSE_IJLi1ELi8ELi1ELi8EEEELi4ELNS_13LoopSchedulerE0ELNS_15PipelineVersionE2EfEEffS7_fSA_SA_SA_NS_16TensorDescriptorINS6_IJNS_5EmbedINS6_IJiiEEENS6_IJiNS_17integral_constantIiLi1EEEEEELb0EEENS_11PassThroughIiEEST_NS_7UnMergeINS6_IJiNSO_IiLi8EEEEEELb0EEEST_EEENS6_IJNSE_IJLi0EEEENSE_IJLi1EEEENSE_IJLi2EEEENSE_IJLi4EEEENSE_IJLi3EEEEEEENS6_IJNSE_IJLi1ELi2EEEES13_S12_NSE_IJLi5ELi6EEEENSE_IJLi7EEEEEEENSE_IJLi5ELi7ELi6EEEElEES1A_S7_NSL_INS6_IJSR_ST_ST_NSU_INS6_IJiNSO_IiLi128EEEEEELb0EEES1D_EEENS6_IJSZ_S10_S11_S13_S12_EEENS6_IJS15_S13_S12_S16_NSE_IJLi7ELi8EEEEEEENSE_IJLi5ELi6ELi7ELi8EEEElEENS_31BlockToCTileMap_M00_N0_M01AdaptILi128ELi128ENSL_INS6_IJSR_ST_ST_EEENS6_IJSZ_S10_S11_EEENS6_IJS15_S13_S12_EEENSE_IJLi3ELi4EEEElEEiEELb0ELi2EEEvPKT0_PKT1_T2_PT3_T4_T5_T6_T7_T8_T9_T10_T11_.uses_flat_scratch, 0
	.set _ZN2ck51kernel_gemm_multiple_d_xdl_cshuffle_lds_direct_loadINS_48GridwiseGemmMultipleD_Xdl_CShuffle_LdsDirectLoadINS_13tensor_layout4gemm8RowMajorENS3_11ColumnMajorENS_5TupleIJEEES4_fffffS7_fNS_16tensor_operation12element_wise11PassThroughESA_SA_LNS_25InMemoryDataOperationEnumE0ELNS8_6device18GemmSpecializationE0ELi1ELi256ELi128ELi128ELi32ELi8ELi8ELi16ELi16ELi4ELi2ENS_8SequenceIJLi4ELi8ELi8EEEENSE_IJLi1ELi0ELi2EEEELi2ELi1ELi1ESF_SG_Li2ELi1ELi1ELi2ELi2ENSE_IJLi1ELi8ELi1ELi8EEEELi4ELNS_13LoopSchedulerE0ELNS_15PipelineVersionE2EfEEffS7_fSA_SA_SA_NS_16TensorDescriptorINS6_IJNS_5EmbedINS6_IJiiEEENS6_IJiNS_17integral_constantIiLi1EEEEEELb0EEENS_11PassThroughIiEEST_NS_7UnMergeINS6_IJiNSO_IiLi8EEEEEELb0EEEST_EEENS6_IJNSE_IJLi0EEEENSE_IJLi1EEEENSE_IJLi2EEEENSE_IJLi4EEEENSE_IJLi3EEEEEEENS6_IJNSE_IJLi1ELi2EEEES13_S12_NSE_IJLi5ELi6EEEENSE_IJLi7EEEEEEENSE_IJLi5ELi7ELi6EEEElEES1A_S7_NSL_INS6_IJSR_ST_ST_NSU_INS6_IJiNSO_IiLi128EEEEEELb0EEES1D_EEENS6_IJSZ_S10_S11_S13_S12_EEENS6_IJS15_S13_S12_S16_NSE_IJLi7ELi8EEEEEEENSE_IJLi5ELi6ELi7ELi8EEEElEENS_31BlockToCTileMap_M00_N0_M01AdaptILi128ELi128ENSL_INS6_IJSR_ST_ST_EEENS6_IJSZ_S10_S11_EEENS6_IJS15_S13_S12_EEENSE_IJLi3ELi4EEEElEEiEELb0ELi2EEEvPKT0_PKT1_T2_PT3_T4_T5_T6_T7_T8_T9_T10_T11_.has_dyn_sized_stack, 0
	.set _ZN2ck51kernel_gemm_multiple_d_xdl_cshuffle_lds_direct_loadINS_48GridwiseGemmMultipleD_Xdl_CShuffle_LdsDirectLoadINS_13tensor_layout4gemm8RowMajorENS3_11ColumnMajorENS_5TupleIJEEES4_fffffS7_fNS_16tensor_operation12element_wise11PassThroughESA_SA_LNS_25InMemoryDataOperationEnumE0ELNS8_6device18GemmSpecializationE0ELi1ELi256ELi128ELi128ELi32ELi8ELi8ELi16ELi16ELi4ELi2ENS_8SequenceIJLi4ELi8ELi8EEEENSE_IJLi1ELi0ELi2EEEELi2ELi1ELi1ESF_SG_Li2ELi1ELi1ELi2ELi2ENSE_IJLi1ELi8ELi1ELi8EEEELi4ELNS_13LoopSchedulerE0ELNS_15PipelineVersionE2EfEEffS7_fSA_SA_SA_NS_16TensorDescriptorINS6_IJNS_5EmbedINS6_IJiiEEENS6_IJiNS_17integral_constantIiLi1EEEEEELb0EEENS_11PassThroughIiEEST_NS_7UnMergeINS6_IJiNSO_IiLi8EEEEEELb0EEEST_EEENS6_IJNSE_IJLi0EEEENSE_IJLi1EEEENSE_IJLi2EEEENSE_IJLi4EEEENSE_IJLi3EEEEEEENS6_IJNSE_IJLi1ELi2EEEES13_S12_NSE_IJLi5ELi6EEEENSE_IJLi7EEEEEEENSE_IJLi5ELi7ELi6EEEElEES1A_S7_NSL_INS6_IJSR_ST_ST_NSU_INS6_IJiNSO_IiLi128EEEEEELb0EEES1D_EEENS6_IJSZ_S10_S11_S13_S12_EEENS6_IJS15_S13_S12_S16_NSE_IJLi7ELi8EEEEEEENSE_IJLi5ELi6ELi7ELi8EEEElEENS_31BlockToCTileMap_M00_N0_M01AdaptILi128ELi128ENSL_INS6_IJSR_ST_ST_EEENS6_IJSZ_S10_S11_EEENS6_IJS15_S13_S12_EEENSE_IJLi3ELi4EEEElEEiEELb0ELi2EEEvPKT0_PKT1_T2_PT3_T4_T5_T6_T7_T8_T9_T10_T11_.has_recursion, 0
	.set _ZN2ck51kernel_gemm_multiple_d_xdl_cshuffle_lds_direct_loadINS_48GridwiseGemmMultipleD_Xdl_CShuffle_LdsDirectLoadINS_13tensor_layout4gemm8RowMajorENS3_11ColumnMajorENS_5TupleIJEEES4_fffffS7_fNS_16tensor_operation12element_wise11PassThroughESA_SA_LNS_25InMemoryDataOperationEnumE0ELNS8_6device18GemmSpecializationE0ELi1ELi256ELi128ELi128ELi32ELi8ELi8ELi16ELi16ELi4ELi2ENS_8SequenceIJLi4ELi8ELi8EEEENSE_IJLi1ELi0ELi2EEEELi2ELi1ELi1ESF_SG_Li2ELi1ELi1ELi2ELi2ENSE_IJLi1ELi8ELi1ELi8EEEELi4ELNS_13LoopSchedulerE0ELNS_15PipelineVersionE2EfEEffS7_fSA_SA_SA_NS_16TensorDescriptorINS6_IJNS_5EmbedINS6_IJiiEEENS6_IJiNS_17integral_constantIiLi1EEEEEELb0EEENS_11PassThroughIiEEST_NS_7UnMergeINS6_IJiNSO_IiLi8EEEEEELb0EEEST_EEENS6_IJNSE_IJLi0EEEENSE_IJLi1EEEENSE_IJLi2EEEENSE_IJLi4EEEENSE_IJLi3EEEEEEENS6_IJNSE_IJLi1ELi2EEEES13_S12_NSE_IJLi5ELi6EEEENSE_IJLi7EEEEEEENSE_IJLi5ELi7ELi6EEEElEES1A_S7_NSL_INS6_IJSR_ST_ST_NSU_INS6_IJiNSO_IiLi128EEEEEELb0EEES1D_EEENS6_IJSZ_S10_S11_S13_S12_EEENS6_IJS15_S13_S12_S16_NSE_IJLi7ELi8EEEEEEENSE_IJLi5ELi6ELi7ELi8EEEElEENS_31BlockToCTileMap_M00_N0_M01AdaptILi128ELi128ENSL_INS6_IJSR_ST_ST_EEENS6_IJSZ_S10_S11_EEENS6_IJS15_S13_S12_EEENSE_IJLi3ELi4EEEElEEiEELb0ELi2EEEvPKT0_PKT1_T2_PT3_T4_T5_T6_T7_T8_T9_T10_T11_.has_indirect_call, 0
	.section	.AMDGPU.csdata,"",@progbits
; Kernel info:
; codeLenInByte = 4
; TotalNumSgprs: 6
; NumVgprs: 0
; NumAgprs: 0
; TotalNumVgprs: 0
; ScratchSize: 0
; MemoryBound: 0
; FloatMode: 240
; IeeeMode: 1
; LDSByteSize: 0 bytes/workgroup (compile time only)
; SGPRBlocks: 0
; VGPRBlocks: 0
; NumSGPRsForWavesPerEU: 6
; NumVGPRsForWavesPerEU: 1
; AccumOffset: 4
; Occupancy: 8
; WaveLimiterHint : 0
; COMPUTE_PGM_RSRC2:SCRATCH_EN: 0
; COMPUTE_PGM_RSRC2:USER_SGPR: 2
; COMPUTE_PGM_RSRC2:TRAP_HANDLER: 0
; COMPUTE_PGM_RSRC2:TGID_X_EN: 1
; COMPUTE_PGM_RSRC2:TGID_Y_EN: 0
; COMPUTE_PGM_RSRC2:TGID_Z_EN: 0
; COMPUTE_PGM_RSRC2:TIDIG_COMP_CNT: 0
; COMPUTE_PGM_RSRC3_GFX90A:ACCUM_OFFSET: 0
; COMPUTE_PGM_RSRC3_GFX90A:TG_SPLIT: 0
	.section	.text._ZN2ck17naive_gemm_kernelINS_13tensor_layout4gemm8RowMajorENS2_11ColumnMajorES3_ffffNS_16tensor_operation12element_wise11PassThroughES7_S7_ffEEvPKT2_PKT3_PT4_iiiT6_T7_T8_,"axG",@progbits,_ZN2ck17naive_gemm_kernelINS_13tensor_layout4gemm8RowMajorENS2_11ColumnMajorES3_ffffNS_16tensor_operation12element_wise11PassThroughES7_S7_ffEEvPKT2_PKT3_PT4_iiiT6_T7_T8_,comdat
	.protected	_ZN2ck17naive_gemm_kernelINS_13tensor_layout4gemm8RowMajorENS2_11ColumnMajorES3_ffffNS_16tensor_operation12element_wise11PassThroughES7_S7_ffEEvPKT2_PKT3_PT4_iiiT6_T7_T8_ ; -- Begin function _ZN2ck17naive_gemm_kernelINS_13tensor_layout4gemm8RowMajorENS2_11ColumnMajorES3_ffffNS_16tensor_operation12element_wise11PassThroughES7_S7_ffEEvPKT2_PKT3_PT4_iiiT6_T7_T8_
	.globl	_ZN2ck17naive_gemm_kernelINS_13tensor_layout4gemm8RowMajorENS2_11ColumnMajorES3_ffffNS_16tensor_operation12element_wise11PassThroughES7_S7_ffEEvPKT2_PKT3_PT4_iiiT6_T7_T8_
	.p2align	8
	.type	_ZN2ck17naive_gemm_kernelINS_13tensor_layout4gemm8RowMajorENS2_11ColumnMajorES3_ffffNS_16tensor_operation12element_wise11PassThroughES7_S7_ffEEvPKT2_PKT3_PT4_iiiT6_T7_T8_,@function
_ZN2ck17naive_gemm_kernelINS_13tensor_layout4gemm8RowMajorENS2_11ColumnMajorES3_ffffNS_16tensor_operation12element_wise11PassThroughES7_S7_ffEEvPKT2_PKT3_PT4_iiiT6_T7_T8_: ; @_ZN2ck17naive_gemm_kernelINS_13tensor_layout4gemm8RowMajorENS2_11ColumnMajorES3_ffffNS_16tensor_operation12element_wise11PassThroughES7_S7_ffEEvPKT2_PKT3_PT4_iiiT6_T7_T8_
; %bb.0:
	s_load_dword s8, s[0:1], 0x34
	s_load_dwordx4 s[4:7], s[0:1], 0x18
	v_and_b32_e32 v1, 0x3ff, v0
	v_bfe_u32 v0, v0, 10, 10
	s_waitcnt lgkmcnt(0)
	s_lshr_b32 s7, s8, 16
	s_and_b32 s8, s8, 0xffff
	s_mul_i32 s2, s2, s8
	s_mul_i32 s3, s3, s7
	v_add_u32_e32 v1, s2, v1
	v_add_u32_e32 v0, s3, v0
	v_cmp_gt_i32_e32 vcc, s4, v1
	v_cmp_gt_i32_e64 s[2:3], s5, v0
	s_and_b64 s[2:3], vcc, s[2:3]
	s_and_saveexec_b64 s[8:9], s[2:3]
	s_cbranch_execz .LBB5_6
; %bb.1:
	s_load_dwordx2 s[2:3], s[0:1], 0x10
	s_cmp_lt_i32 s6, 1
	s_cbranch_scc1 .LBB5_4
; %bb.2:
	s_load_dwordx4 s[8:11], s[0:1], 0x0
	v_mul_lo_u32 v4, v1, s6
	v_mul_lo_u32 v2, v0, s6
	v_ashrrev_i32_e32 v3, 31, v2
	v_ashrrev_i32_e32 v5, 31, v4
	s_waitcnt lgkmcnt(0)
	v_lshl_add_u64 v[2:3], v[2:3], 2, s[10:11]
	v_lshl_add_u64 v[4:5], v[4:5], 2, s[8:9]
	v_mov_b32_e32 v6, 0
.LBB5_3:                                ; =>This Inner Loop Header: Depth=1
	global_load_dword v7, v[4:5], off
	global_load_dword v8, v[2:3], off
	s_add_i32 s6, s6, -1
	v_lshl_add_u64 v[2:3], v[2:3], 0, 4
	v_lshl_add_u64 v[4:5], v[4:5], 0, 4
	s_cmp_eq_u32 s6, 0
	s_waitcnt vmcnt(0)
	v_fmac_f32_e32 v6, v7, v8
	s_cbranch_scc0 .LBB5_3
	s_branch .LBB5_5
.LBB5_4:
	v_mov_b32_e32 v6, 0
.LBB5_5:
	v_mad_u64_u32 v[0:1], s[0:1], v1, s5, v[0:1]
	v_ashrrev_i32_e32 v1, 31, v0
	s_waitcnt lgkmcnt(0)
	v_lshl_add_u64 v[0:1], v[0:1], 2, s[2:3]
	global_store_dword v[0:1], v6, off
.LBB5_6:
	s_endpgm
	.section	.rodata,"a",@progbits
	.p2align	6, 0x0
	.amdhsa_kernel _ZN2ck17naive_gemm_kernelINS_13tensor_layout4gemm8RowMajorENS2_11ColumnMajorES3_ffffNS_16tensor_operation12element_wise11PassThroughES7_S7_ffEEvPKT2_PKT3_PT4_iiiT6_T7_T8_
		.amdhsa_group_segment_fixed_size 0
		.amdhsa_private_segment_fixed_size 0
		.amdhsa_kernarg_size 296
		.amdhsa_user_sgpr_count 2
		.amdhsa_user_sgpr_dispatch_ptr 0
		.amdhsa_user_sgpr_queue_ptr 0
		.amdhsa_user_sgpr_kernarg_segment_ptr 1
		.amdhsa_user_sgpr_dispatch_id 0
		.amdhsa_user_sgpr_kernarg_preload_length 0
		.amdhsa_user_sgpr_kernarg_preload_offset 0
		.amdhsa_user_sgpr_private_segment_size 0
		.amdhsa_uses_dynamic_stack 0
		.amdhsa_enable_private_segment 0
		.amdhsa_system_sgpr_workgroup_id_x 1
		.amdhsa_system_sgpr_workgroup_id_y 1
		.amdhsa_system_sgpr_workgroup_id_z 0
		.amdhsa_system_sgpr_workgroup_info 0
		.amdhsa_system_vgpr_workitem_id 1
		.amdhsa_next_free_vgpr 9
		.amdhsa_next_free_sgpr 12
		.amdhsa_accum_offset 12
		.amdhsa_reserve_vcc 1
		.amdhsa_float_round_mode_32 0
		.amdhsa_float_round_mode_16_64 0
		.amdhsa_float_denorm_mode_32 3
		.amdhsa_float_denorm_mode_16_64 3
		.amdhsa_dx10_clamp 1
		.amdhsa_ieee_mode 1
		.amdhsa_fp16_overflow 0
		.amdhsa_tg_split 0
		.amdhsa_exception_fp_ieee_invalid_op 0
		.amdhsa_exception_fp_denorm_src 0
		.amdhsa_exception_fp_ieee_div_zero 0
		.amdhsa_exception_fp_ieee_overflow 0
		.amdhsa_exception_fp_ieee_underflow 0
		.amdhsa_exception_fp_ieee_inexact 0
		.amdhsa_exception_int_div_zero 0
	.end_amdhsa_kernel
	.section	.text._ZN2ck17naive_gemm_kernelINS_13tensor_layout4gemm8RowMajorENS2_11ColumnMajorES3_ffffNS_16tensor_operation12element_wise11PassThroughES7_S7_ffEEvPKT2_PKT3_PT4_iiiT6_T7_T8_,"axG",@progbits,_ZN2ck17naive_gemm_kernelINS_13tensor_layout4gemm8RowMajorENS2_11ColumnMajorES3_ffffNS_16tensor_operation12element_wise11PassThroughES7_S7_ffEEvPKT2_PKT3_PT4_iiiT6_T7_T8_,comdat
.Lfunc_end5:
	.size	_ZN2ck17naive_gemm_kernelINS_13tensor_layout4gemm8RowMajorENS2_11ColumnMajorES3_ffffNS_16tensor_operation12element_wise11PassThroughES7_S7_ffEEvPKT2_PKT3_PT4_iiiT6_T7_T8_, .Lfunc_end5-_ZN2ck17naive_gemm_kernelINS_13tensor_layout4gemm8RowMajorENS2_11ColumnMajorES3_ffffNS_16tensor_operation12element_wise11PassThroughES7_S7_ffEEvPKT2_PKT3_PT4_iiiT6_T7_T8_
                                        ; -- End function
	.set _ZN2ck17naive_gemm_kernelINS_13tensor_layout4gemm8RowMajorENS2_11ColumnMajorES3_ffffNS_16tensor_operation12element_wise11PassThroughES7_S7_ffEEvPKT2_PKT3_PT4_iiiT6_T7_T8_.num_vgpr, 9
	.set _ZN2ck17naive_gemm_kernelINS_13tensor_layout4gemm8RowMajorENS2_11ColumnMajorES3_ffffNS_16tensor_operation12element_wise11PassThroughES7_S7_ffEEvPKT2_PKT3_PT4_iiiT6_T7_T8_.num_agpr, 0
	.set _ZN2ck17naive_gemm_kernelINS_13tensor_layout4gemm8RowMajorENS2_11ColumnMajorES3_ffffNS_16tensor_operation12element_wise11PassThroughES7_S7_ffEEvPKT2_PKT3_PT4_iiiT6_T7_T8_.numbered_sgpr, 12
	.set _ZN2ck17naive_gemm_kernelINS_13tensor_layout4gemm8RowMajorENS2_11ColumnMajorES3_ffffNS_16tensor_operation12element_wise11PassThroughES7_S7_ffEEvPKT2_PKT3_PT4_iiiT6_T7_T8_.num_named_barrier, 0
	.set _ZN2ck17naive_gemm_kernelINS_13tensor_layout4gemm8RowMajorENS2_11ColumnMajorES3_ffffNS_16tensor_operation12element_wise11PassThroughES7_S7_ffEEvPKT2_PKT3_PT4_iiiT6_T7_T8_.private_seg_size, 0
	.set _ZN2ck17naive_gemm_kernelINS_13tensor_layout4gemm8RowMajorENS2_11ColumnMajorES3_ffffNS_16tensor_operation12element_wise11PassThroughES7_S7_ffEEvPKT2_PKT3_PT4_iiiT6_T7_T8_.uses_vcc, 1
	.set _ZN2ck17naive_gemm_kernelINS_13tensor_layout4gemm8RowMajorENS2_11ColumnMajorES3_ffffNS_16tensor_operation12element_wise11PassThroughES7_S7_ffEEvPKT2_PKT3_PT4_iiiT6_T7_T8_.uses_flat_scratch, 0
	.set _ZN2ck17naive_gemm_kernelINS_13tensor_layout4gemm8RowMajorENS2_11ColumnMajorES3_ffffNS_16tensor_operation12element_wise11PassThroughES7_S7_ffEEvPKT2_PKT3_PT4_iiiT6_T7_T8_.has_dyn_sized_stack, 0
	.set _ZN2ck17naive_gemm_kernelINS_13tensor_layout4gemm8RowMajorENS2_11ColumnMajorES3_ffffNS_16tensor_operation12element_wise11PassThroughES7_S7_ffEEvPKT2_PKT3_PT4_iiiT6_T7_T8_.has_recursion, 0
	.set _ZN2ck17naive_gemm_kernelINS_13tensor_layout4gemm8RowMajorENS2_11ColumnMajorES3_ffffNS_16tensor_operation12element_wise11PassThroughES7_S7_ffEEvPKT2_PKT3_PT4_iiiT6_T7_T8_.has_indirect_call, 0
	.section	.AMDGPU.csdata,"",@progbits
; Kernel info:
; codeLenInByte = 256
; TotalNumSgprs: 18
; NumVgprs: 9
; NumAgprs: 0
; TotalNumVgprs: 9
; ScratchSize: 0
; MemoryBound: 0
; FloatMode: 240
; IeeeMode: 1
; LDSByteSize: 0 bytes/workgroup (compile time only)
; SGPRBlocks: 2
; VGPRBlocks: 1
; NumSGPRsForWavesPerEU: 18
; NumVGPRsForWavesPerEU: 9
; AccumOffset: 12
; Occupancy: 8
; WaveLimiterHint : 0
; COMPUTE_PGM_RSRC2:SCRATCH_EN: 0
; COMPUTE_PGM_RSRC2:USER_SGPR: 2
; COMPUTE_PGM_RSRC2:TRAP_HANDLER: 0
; COMPUTE_PGM_RSRC2:TGID_X_EN: 1
; COMPUTE_PGM_RSRC2:TGID_Y_EN: 1
; COMPUTE_PGM_RSRC2:TGID_Z_EN: 0
; COMPUTE_PGM_RSRC2:TIDIG_COMP_CNT: 1
; COMPUTE_PGM_RSRC3_GFX90A:ACCUM_OFFSET: 2
; COMPUTE_PGM_RSRC3_GFX90A:TG_SPLIT: 0
	.section	.AMDGPU.gpr_maximums,"",@progbits
	.set amdgpu.max_num_vgpr, 0
	.set amdgpu.max_num_agpr, 0
	.set amdgpu.max_num_sgpr, 0
	.section	.AMDGPU.csdata,"",@progbits
	.type	__hip_cuid_7dcd7b0e4e55f33b,@object ; @__hip_cuid_7dcd7b0e4e55f33b
	.section	.bss,"aw",@nobits
	.globl	__hip_cuid_7dcd7b0e4e55f33b
__hip_cuid_7dcd7b0e4e55f33b:
	.byte	0                               ; 0x0
	.size	__hip_cuid_7dcd7b0e4e55f33b, 1

	.ident	"AMD clang version 22.0.0git (https://github.com/RadeonOpenCompute/llvm-project roc-7.2.4 26084 f58b06dce1f9c15707c5f808fd002e18c2accf7e)"
	.section	".note.GNU-stack","",@progbits
	.addrsig
	.addrsig_sym __hip_cuid_7dcd7b0e4e55f33b
	.amdgpu_metadata
---
amdhsa.kernels:
  - .agpr_count:     0
    .args:           []
    .group_segment_fixed_size: 0
    .kernarg_segment_align: 4
    .kernarg_segment_size: 0
    .language:       OpenCL C
    .language_version:
      - 2
      - 0
    .max_flat_workgroup_size: 1024
    .name:           _ZN2ckL12flush_icacheEv
    .private_segment_fixed_size: 0
    .sgpr_count:     6
    .sgpr_spill_count: 0
    .symbol:         _ZN2ckL12flush_icacheEv.kd
    .uniform_work_group_size: 1
    .uses_dynamic_stack: false
    .vgpr_count:     0
    .vgpr_spill_count: 0
    .wavefront_size: 64
  - .agpr_count:     0
    .args:
      - .address_space:  global
        .offset:         0
        .size:           8
        .value_kind:     global_buffer
      - .address_space:  global
        .offset:         8
        .size:           8
        .value_kind:     global_buffer
      - .offset:         16
        .size:           1
        .value_kind:     by_value
      - .actual_access:  write_only
        .address_space:  global
        .offset:         24
        .size:           8
        .value_kind:     global_buffer
      - .offset:         32
        .size:           1
        .value_kind:     by_value
      - .offset:         33
        .size:           1
        .value_kind:     by_value
      - .offset:         34
        .size:           1
        .value_kind:     by_value
      - .offset:         40
        .size:           56
        .value_kind:     by_value
      - .offset:         96
        .size:           56
        .value_kind:     by_value
      - .offset:         152
        .size:           1
        .value_kind:     by_value
      - .offset:         160
        .size:           64
        .value_kind:     by_value
      - .offset:         224
        .size:           12
        .value_kind:     by_value
    .group_segment_fixed_size: 32768
    .kernarg_segment_align: 8
    .kernarg_segment_size: 236
    .language:       OpenCL C
    .language_version:
      - 2
      - 0
    .max_flat_workgroup_size: 256
    .name:           _ZN2ck51kernel_gemm_multiple_d_xdl_cshuffle_lds_direct_loadINS_48GridwiseGemmMultipleD_Xdl_CShuffle_LdsDirectLoadINS_13tensor_layout4gemm8RowMajorENS3_11ColumnMajorENS_5TupleIJEEES4_fffffS7_fNS_16tensor_operation12element_wise11PassThroughESA_SA_LNS_25InMemoryDataOperationEnumE0ELNS8_6device18GemmSpecializationE0ELi1ELi256ELi128ELi128ELi32ELi8ELi8ELi32ELi32ELi2ELi2ENS_8SequenceIJLi4ELi8ELi8EEEENSE_IJLi1ELi0ELi2EEEELi2ELi1ELi1ESF_SG_Li2ELi1ELi1ELi1ELi1ENSE_IJLi1ELi8ELi1ELi8EEEELi4ELNS_13LoopSchedulerE0ELNS_15PipelineVersionE2EfEEffS7_fSA_SA_SA_NS_16TensorDescriptorINS6_IJNS_5EmbedINS6_IJiiEEENS6_IJiNS_17integral_constantIiLi1EEEEEELb0EEENS_11PassThroughIiEEST_NS_7UnMergeINS6_IJiNSO_IiLi8EEEEEELb0EEEST_EEENS6_IJNSE_IJLi0EEEENSE_IJLi1EEEENSE_IJLi2EEEENSE_IJLi4EEEENSE_IJLi3EEEEEEENS6_IJNSE_IJLi1ELi2EEEES13_S12_NSE_IJLi5ELi6EEEENSE_IJLi7EEEEEEENSE_IJLi5ELi7ELi6EEEElEES1A_S7_NSL_INS6_IJSR_ST_ST_NSU_INS6_IJiNSO_IiLi128EEEEEELb0EEES1D_EEENS6_IJSZ_S10_S11_S13_S12_EEENS6_IJS15_S13_S12_S16_NSE_IJLi7ELi8EEEEEEENSE_IJLi5ELi6ELi7ELi8EEEElEENS_31BlockToCTileMap_M00_N0_M01AdaptILi128ELi128ENSL_INS6_IJSR_ST_ST_EEENS6_IJSZ_S10_S11_EEENS6_IJS15_S13_S12_EEENSE_IJLi3ELi4EEEElEEiEELb1ELi2EEEvPKT0_PKT1_T2_PT3_T4_T5_T6_T7_T8_T9_T10_T11_
    .private_segment_fixed_size: 0
    .sgpr_count:     29
    .sgpr_spill_count: 0
    .symbol:         _ZN2ck51kernel_gemm_multiple_d_xdl_cshuffle_lds_direct_loadINS_48GridwiseGemmMultipleD_Xdl_CShuffle_LdsDirectLoadINS_13tensor_layout4gemm8RowMajorENS3_11ColumnMajorENS_5TupleIJEEES4_fffffS7_fNS_16tensor_operation12element_wise11PassThroughESA_SA_LNS_25InMemoryDataOperationEnumE0ELNS8_6device18GemmSpecializationE0ELi1ELi256ELi128ELi128ELi32ELi8ELi8ELi32ELi32ELi2ELi2ENS_8SequenceIJLi4ELi8ELi8EEEENSE_IJLi1ELi0ELi2EEEELi2ELi1ELi1ESF_SG_Li2ELi1ELi1ELi1ELi1ENSE_IJLi1ELi8ELi1ELi8EEEELi4ELNS_13LoopSchedulerE0ELNS_15PipelineVersionE2EfEEffS7_fSA_SA_SA_NS_16TensorDescriptorINS6_IJNS_5EmbedINS6_IJiiEEENS6_IJiNS_17integral_constantIiLi1EEEEEELb0EEENS_11PassThroughIiEEST_NS_7UnMergeINS6_IJiNSO_IiLi8EEEEEELb0EEEST_EEENS6_IJNSE_IJLi0EEEENSE_IJLi1EEEENSE_IJLi2EEEENSE_IJLi4EEEENSE_IJLi3EEEEEEENS6_IJNSE_IJLi1ELi2EEEES13_S12_NSE_IJLi5ELi6EEEENSE_IJLi7EEEEEEENSE_IJLi5ELi7ELi6EEEElEES1A_S7_NSL_INS6_IJSR_ST_ST_NSU_INS6_IJiNSO_IiLi128EEEEEELb0EEES1D_EEENS6_IJSZ_S10_S11_S13_S12_EEENS6_IJS15_S13_S12_S16_NSE_IJLi7ELi8EEEEEEENSE_IJLi5ELi6ELi7ELi8EEEElEENS_31BlockToCTileMap_M00_N0_M01AdaptILi128ELi128ENSL_INS6_IJSR_ST_ST_EEENS6_IJSZ_S10_S11_EEENS6_IJS15_S13_S12_EEENSE_IJLi3ELi4EEEElEEiEELb1ELi2EEEvPKT0_PKT1_T2_PT3_T4_T5_T6_T7_T8_T9_T10_T11_.kd
    .uniform_work_group_size: 1
    .uses_dynamic_stack: false
    .vgpr_count:     124
    .vgpr_spill_count: 0
    .wavefront_size: 64
  - .agpr_count:     0
    .args:
      - .address_space:  global
        .offset:         0
        .size:           8
        .value_kind:     global_buffer
      - .address_space:  global
        .offset:         8
        .size:           8
        .value_kind:     global_buffer
      - .offset:         16
        .size:           1
        .value_kind:     by_value
      - .actual_access:  write_only
        .address_space:  global
        .offset:         24
        .size:           8
        .value_kind:     global_buffer
      - .offset:         32
        .size:           1
        .value_kind:     by_value
      - .offset:         33
        .size:           1
        .value_kind:     by_value
      - .offset:         34
        .size:           1
        .value_kind:     by_value
      - .offset:         40
        .size:           56
        .value_kind:     by_value
      - .offset:         96
        .size:           56
        .value_kind:     by_value
      - .offset:         152
        .size:           1
        .value_kind:     by_value
      - .offset:         160
        .size:           64
        .value_kind:     by_value
      - .offset:         224
        .size:           12
        .value_kind:     by_value
    .group_segment_fixed_size: 32768
    .kernarg_segment_align: 8
    .kernarg_segment_size: 236
    .language:       OpenCL C
    .language_version:
      - 2
      - 0
    .max_flat_workgroup_size: 256
    .name:           _ZN2ck51kernel_gemm_multiple_d_xdl_cshuffle_lds_direct_loadINS_48GridwiseGemmMultipleD_Xdl_CShuffle_LdsDirectLoadINS_13tensor_layout4gemm8RowMajorENS3_11ColumnMajorENS_5TupleIJEEES4_fffffS7_fNS_16tensor_operation12element_wise11PassThroughESA_SA_LNS_25InMemoryDataOperationEnumE0ELNS8_6device18GemmSpecializationE0ELi1ELi256ELi128ELi128ELi32ELi8ELi8ELi32ELi32ELi2ELi2ENS_8SequenceIJLi4ELi8ELi8EEEENSE_IJLi1ELi0ELi2EEEELi2ELi1ELi1ESF_SG_Li2ELi1ELi1ELi1ELi1ENSE_IJLi1ELi8ELi1ELi8EEEELi4ELNS_13LoopSchedulerE0ELNS_15PipelineVersionE2EfEEffS7_fSA_SA_SA_NS_16TensorDescriptorINS6_IJNS_5EmbedINS6_IJiiEEENS6_IJiNS_17integral_constantIiLi1EEEEEELb0EEENS_11PassThroughIiEEST_NS_7UnMergeINS6_IJiNSO_IiLi8EEEEEELb0EEEST_EEENS6_IJNSE_IJLi0EEEENSE_IJLi1EEEENSE_IJLi2EEEENSE_IJLi4EEEENSE_IJLi3EEEEEEENS6_IJNSE_IJLi1ELi2EEEES13_S12_NSE_IJLi5ELi6EEEENSE_IJLi7EEEEEEENSE_IJLi5ELi7ELi6EEEElEES1A_S7_NSL_INS6_IJSR_ST_ST_NSU_INS6_IJiNSO_IiLi128EEEEEELb0EEES1D_EEENS6_IJSZ_S10_S11_S13_S12_EEENS6_IJS15_S13_S12_S16_NSE_IJLi7ELi8EEEEEEENSE_IJLi5ELi6ELi7ELi8EEEElEENS_31BlockToCTileMap_M00_N0_M01AdaptILi128ELi128ENSL_INS6_IJSR_ST_ST_EEENS6_IJSZ_S10_S11_EEENS6_IJS15_S13_S12_EEENSE_IJLi3ELi4EEEElEEiEELb0ELi2EEEvPKT0_PKT1_T2_PT3_T4_T5_T6_T7_T8_T9_T10_T11_
    .private_segment_fixed_size: 0
    .sgpr_count:     27
    .sgpr_spill_count: 0
    .symbol:         _ZN2ck51kernel_gemm_multiple_d_xdl_cshuffle_lds_direct_loadINS_48GridwiseGemmMultipleD_Xdl_CShuffle_LdsDirectLoadINS_13tensor_layout4gemm8RowMajorENS3_11ColumnMajorENS_5TupleIJEEES4_fffffS7_fNS_16tensor_operation12element_wise11PassThroughESA_SA_LNS_25InMemoryDataOperationEnumE0ELNS8_6device18GemmSpecializationE0ELi1ELi256ELi128ELi128ELi32ELi8ELi8ELi32ELi32ELi2ELi2ENS_8SequenceIJLi4ELi8ELi8EEEENSE_IJLi1ELi0ELi2EEEELi2ELi1ELi1ESF_SG_Li2ELi1ELi1ELi1ELi1ENSE_IJLi1ELi8ELi1ELi8EEEELi4ELNS_13LoopSchedulerE0ELNS_15PipelineVersionE2EfEEffS7_fSA_SA_SA_NS_16TensorDescriptorINS6_IJNS_5EmbedINS6_IJiiEEENS6_IJiNS_17integral_constantIiLi1EEEEEELb0EEENS_11PassThroughIiEEST_NS_7UnMergeINS6_IJiNSO_IiLi8EEEEEELb0EEEST_EEENS6_IJNSE_IJLi0EEEENSE_IJLi1EEEENSE_IJLi2EEEENSE_IJLi4EEEENSE_IJLi3EEEEEEENS6_IJNSE_IJLi1ELi2EEEES13_S12_NSE_IJLi5ELi6EEEENSE_IJLi7EEEEEEENSE_IJLi5ELi7ELi6EEEElEES1A_S7_NSL_INS6_IJSR_ST_ST_NSU_INS6_IJiNSO_IiLi128EEEEEELb0EEES1D_EEENS6_IJSZ_S10_S11_S13_S12_EEENS6_IJS15_S13_S12_S16_NSE_IJLi7ELi8EEEEEEENSE_IJLi5ELi6ELi7ELi8EEEElEENS_31BlockToCTileMap_M00_N0_M01AdaptILi128ELi128ENSL_INS6_IJSR_ST_ST_EEENS6_IJSZ_S10_S11_EEENS6_IJS15_S13_S12_EEENSE_IJLi3ELi4EEEElEEiEELb0ELi2EEEvPKT0_PKT1_T2_PT3_T4_T5_T6_T7_T8_T9_T10_T11_.kd
    .uniform_work_group_size: 1
    .uses_dynamic_stack: false
    .vgpr_count:     88
    .vgpr_spill_count: 0
    .wavefront_size: 64
  - .agpr_count:     0
    .args:
      - .actual_access:  read_only
        .address_space:  global
        .offset:         0
        .size:           8
        .value_kind:     global_buffer
      - .actual_access:  read_only
        .address_space:  global
        .offset:         8
        .size:           8
        .value_kind:     global_buffer
      - .offset:         16
        .size:           1
        .value_kind:     by_value
      - .actual_access:  read_only
        .address_space:  global
        .offset:         24
        .size:           8
        .value_kind:     global_buffer
      - .offset:         32
        .size:           1
        .value_kind:     by_value
      - .offset:         33
        .size:           1
        .value_kind:     by_value
      - .offset:         34
        .size:           1
        .value_kind:     by_value
      - .offset:         40
        .size:           56
        .value_kind:     by_value
      - .offset:         96
        .size:           56
        .value_kind:     by_value
      - .offset:         152
        .size:           1
        .value_kind:     by_value
      - .offset:         160
        .size:           64
        .value_kind:     by_value
      - .offset:         224
        .size:           12
        .value_kind:     by_value
    .group_segment_fixed_size: 0
    .kernarg_segment_align: 8
    .kernarg_segment_size: 236
    .language:       OpenCL C
    .language_version:
      - 2
      - 0
    .max_flat_workgroup_size: 256
    .name:           _ZN2ck51kernel_gemm_multiple_d_xdl_cshuffle_lds_direct_loadINS_48GridwiseGemmMultipleD_Xdl_CShuffle_LdsDirectLoadINS_13tensor_layout4gemm8RowMajorENS3_11ColumnMajorENS_5TupleIJEEES4_fffffS7_fNS_16tensor_operation12element_wise11PassThroughESA_SA_LNS_25InMemoryDataOperationEnumE0ELNS8_6device18GemmSpecializationE0ELi1ELi256ELi128ELi128ELi32ELi8ELi8ELi16ELi16ELi4ELi2ENS_8SequenceIJLi4ELi8ELi8EEEENSE_IJLi1ELi0ELi2EEEELi2ELi1ELi1ESF_SG_Li2ELi1ELi1ELi2ELi2ENSE_IJLi1ELi8ELi1ELi8EEEELi4ELNS_13LoopSchedulerE0ELNS_15PipelineVersionE2EfEEffS7_fSA_SA_SA_NS_16TensorDescriptorINS6_IJNS_5EmbedINS6_IJiiEEENS6_IJiNS_17integral_constantIiLi1EEEEEELb0EEENS_11PassThroughIiEEST_NS_7UnMergeINS6_IJiNSO_IiLi8EEEEEELb0EEEST_EEENS6_IJNSE_IJLi0EEEENSE_IJLi1EEEENSE_IJLi2EEEENSE_IJLi4EEEENSE_IJLi3EEEEEEENS6_IJNSE_IJLi1ELi2EEEES13_S12_NSE_IJLi5ELi6EEEENSE_IJLi7EEEEEEENSE_IJLi5ELi7ELi6EEEElEES1A_S7_NSL_INS6_IJSR_ST_ST_NSU_INS6_IJiNSO_IiLi128EEEEEELb0EEES1D_EEENS6_IJSZ_S10_S11_S13_S12_EEENS6_IJS15_S13_S12_S16_NSE_IJLi7ELi8EEEEEEENSE_IJLi5ELi6ELi7ELi8EEEElEENS_31BlockToCTileMap_M00_N0_M01AdaptILi128ELi128ENSL_INS6_IJSR_ST_ST_EEENS6_IJSZ_S10_S11_EEENS6_IJS15_S13_S12_EEENSE_IJLi3ELi4EEEElEEiEELb1ELi2EEEvPKT0_PKT1_T2_PT3_T4_T5_T6_T7_T8_T9_T10_T11_
    .private_segment_fixed_size: 0
    .sgpr_count:     6
    .sgpr_spill_count: 0
    .symbol:         _ZN2ck51kernel_gemm_multiple_d_xdl_cshuffle_lds_direct_loadINS_48GridwiseGemmMultipleD_Xdl_CShuffle_LdsDirectLoadINS_13tensor_layout4gemm8RowMajorENS3_11ColumnMajorENS_5TupleIJEEES4_fffffS7_fNS_16tensor_operation12element_wise11PassThroughESA_SA_LNS_25InMemoryDataOperationEnumE0ELNS8_6device18GemmSpecializationE0ELi1ELi256ELi128ELi128ELi32ELi8ELi8ELi16ELi16ELi4ELi2ENS_8SequenceIJLi4ELi8ELi8EEEENSE_IJLi1ELi0ELi2EEEELi2ELi1ELi1ESF_SG_Li2ELi1ELi1ELi2ELi2ENSE_IJLi1ELi8ELi1ELi8EEEELi4ELNS_13LoopSchedulerE0ELNS_15PipelineVersionE2EfEEffS7_fSA_SA_SA_NS_16TensorDescriptorINS6_IJNS_5EmbedINS6_IJiiEEENS6_IJiNS_17integral_constantIiLi1EEEEEELb0EEENS_11PassThroughIiEEST_NS_7UnMergeINS6_IJiNSO_IiLi8EEEEEELb0EEEST_EEENS6_IJNSE_IJLi0EEEENSE_IJLi1EEEENSE_IJLi2EEEENSE_IJLi4EEEENSE_IJLi3EEEEEEENS6_IJNSE_IJLi1ELi2EEEES13_S12_NSE_IJLi5ELi6EEEENSE_IJLi7EEEEEEENSE_IJLi5ELi7ELi6EEEElEES1A_S7_NSL_INS6_IJSR_ST_ST_NSU_INS6_IJiNSO_IiLi128EEEEEELb0EEES1D_EEENS6_IJSZ_S10_S11_S13_S12_EEENS6_IJS15_S13_S12_S16_NSE_IJLi7ELi8EEEEEEENSE_IJLi5ELi6ELi7ELi8EEEElEENS_31BlockToCTileMap_M00_N0_M01AdaptILi128ELi128ENSL_INS6_IJSR_ST_ST_EEENS6_IJSZ_S10_S11_EEENS6_IJS15_S13_S12_EEENSE_IJLi3ELi4EEEElEEiEELb1ELi2EEEvPKT0_PKT1_T2_PT3_T4_T5_T6_T7_T8_T9_T10_T11_.kd
    .uniform_work_group_size: 1
    .uses_dynamic_stack: false
    .vgpr_count:     0
    .vgpr_spill_count: 0
    .wavefront_size: 64
  - .agpr_count:     0
    .args:
      - .actual_access:  read_only
        .address_space:  global
        .offset:         0
        .size:           8
        .value_kind:     global_buffer
      - .actual_access:  read_only
        .address_space:  global
        .offset:         8
        .size:           8
        .value_kind:     global_buffer
      - .offset:         16
        .size:           1
        .value_kind:     by_value
      - .actual_access:  read_only
        .address_space:  global
        .offset:         24
        .size:           8
        .value_kind:     global_buffer
      - .offset:         32
        .size:           1
        .value_kind:     by_value
      - .offset:         33
        .size:           1
        .value_kind:     by_value
      - .offset:         34
        .size:           1
        .value_kind:     by_value
      - .offset:         40
        .size:           56
        .value_kind:     by_value
      - .offset:         96
        .size:           56
        .value_kind:     by_value
      - .offset:         152
        .size:           1
        .value_kind:     by_value
      - .offset:         160
        .size:           64
        .value_kind:     by_value
      - .offset:         224
        .size:           12
        .value_kind:     by_value
    .group_segment_fixed_size: 0
    .kernarg_segment_align: 8
    .kernarg_segment_size: 236
    .language:       OpenCL C
    .language_version:
      - 2
      - 0
    .max_flat_workgroup_size: 256
    .name:           _ZN2ck51kernel_gemm_multiple_d_xdl_cshuffle_lds_direct_loadINS_48GridwiseGemmMultipleD_Xdl_CShuffle_LdsDirectLoadINS_13tensor_layout4gemm8RowMajorENS3_11ColumnMajorENS_5TupleIJEEES4_fffffS7_fNS_16tensor_operation12element_wise11PassThroughESA_SA_LNS_25InMemoryDataOperationEnumE0ELNS8_6device18GemmSpecializationE0ELi1ELi256ELi128ELi128ELi32ELi8ELi8ELi16ELi16ELi4ELi2ENS_8SequenceIJLi4ELi8ELi8EEEENSE_IJLi1ELi0ELi2EEEELi2ELi1ELi1ESF_SG_Li2ELi1ELi1ELi2ELi2ENSE_IJLi1ELi8ELi1ELi8EEEELi4ELNS_13LoopSchedulerE0ELNS_15PipelineVersionE2EfEEffS7_fSA_SA_SA_NS_16TensorDescriptorINS6_IJNS_5EmbedINS6_IJiiEEENS6_IJiNS_17integral_constantIiLi1EEEEEELb0EEENS_11PassThroughIiEEST_NS_7UnMergeINS6_IJiNSO_IiLi8EEEEEELb0EEEST_EEENS6_IJNSE_IJLi0EEEENSE_IJLi1EEEENSE_IJLi2EEEENSE_IJLi4EEEENSE_IJLi3EEEEEEENS6_IJNSE_IJLi1ELi2EEEES13_S12_NSE_IJLi5ELi6EEEENSE_IJLi7EEEEEEENSE_IJLi5ELi7ELi6EEEElEES1A_S7_NSL_INS6_IJSR_ST_ST_NSU_INS6_IJiNSO_IiLi128EEEEEELb0EEES1D_EEENS6_IJSZ_S10_S11_S13_S12_EEENS6_IJS15_S13_S12_S16_NSE_IJLi7ELi8EEEEEEENSE_IJLi5ELi6ELi7ELi8EEEElEENS_31BlockToCTileMap_M00_N0_M01AdaptILi128ELi128ENSL_INS6_IJSR_ST_ST_EEENS6_IJSZ_S10_S11_EEENS6_IJS15_S13_S12_EEENSE_IJLi3ELi4EEEElEEiEELb0ELi2EEEvPKT0_PKT1_T2_PT3_T4_T5_T6_T7_T8_T9_T10_T11_
    .private_segment_fixed_size: 0
    .sgpr_count:     6
    .sgpr_spill_count: 0
    .symbol:         _ZN2ck51kernel_gemm_multiple_d_xdl_cshuffle_lds_direct_loadINS_48GridwiseGemmMultipleD_Xdl_CShuffle_LdsDirectLoadINS_13tensor_layout4gemm8RowMajorENS3_11ColumnMajorENS_5TupleIJEEES4_fffffS7_fNS_16tensor_operation12element_wise11PassThroughESA_SA_LNS_25InMemoryDataOperationEnumE0ELNS8_6device18GemmSpecializationE0ELi1ELi256ELi128ELi128ELi32ELi8ELi8ELi16ELi16ELi4ELi2ENS_8SequenceIJLi4ELi8ELi8EEEENSE_IJLi1ELi0ELi2EEEELi2ELi1ELi1ESF_SG_Li2ELi1ELi1ELi2ELi2ENSE_IJLi1ELi8ELi1ELi8EEEELi4ELNS_13LoopSchedulerE0ELNS_15PipelineVersionE2EfEEffS7_fSA_SA_SA_NS_16TensorDescriptorINS6_IJNS_5EmbedINS6_IJiiEEENS6_IJiNS_17integral_constantIiLi1EEEEEELb0EEENS_11PassThroughIiEEST_NS_7UnMergeINS6_IJiNSO_IiLi8EEEEEELb0EEEST_EEENS6_IJNSE_IJLi0EEEENSE_IJLi1EEEENSE_IJLi2EEEENSE_IJLi4EEEENSE_IJLi3EEEEEEENS6_IJNSE_IJLi1ELi2EEEES13_S12_NSE_IJLi5ELi6EEEENSE_IJLi7EEEEEEENSE_IJLi5ELi7ELi6EEEElEES1A_S7_NSL_INS6_IJSR_ST_ST_NSU_INS6_IJiNSO_IiLi128EEEEEELb0EEES1D_EEENS6_IJSZ_S10_S11_S13_S12_EEENS6_IJS15_S13_S12_S16_NSE_IJLi7ELi8EEEEEEENSE_IJLi5ELi6ELi7ELi8EEEElEENS_31BlockToCTileMap_M00_N0_M01AdaptILi128ELi128ENSL_INS6_IJSR_ST_ST_EEENS6_IJSZ_S10_S11_EEENS6_IJS15_S13_S12_EEENSE_IJLi3ELi4EEEElEEiEELb0ELi2EEEvPKT0_PKT1_T2_PT3_T4_T5_T6_T7_T8_T9_T10_T11_.kd
    .uniform_work_group_size: 1
    .uses_dynamic_stack: false
    .vgpr_count:     0
    .vgpr_spill_count: 0
    .wavefront_size: 64
  - .agpr_count:     0
    .args:
      - .actual_access:  read_only
        .address_space:  global
        .offset:         0
        .size:           8
        .value_kind:     global_buffer
      - .actual_access:  read_only
        .address_space:  global
        .offset:         8
        .size:           8
        .value_kind:     global_buffer
      - .actual_access:  write_only
        .address_space:  global
        .offset:         16
        .size:           8
        .value_kind:     global_buffer
      - .offset:         24
        .size:           4
        .value_kind:     by_value
      - .offset:         28
        .size:           4
        .value_kind:     by_value
      - .offset:         32
        .size:           4
        .value_kind:     by_value
      - .offset:         36
        .size:           1
        .value_kind:     by_value
      - .offset:         37
        .size:           1
        .value_kind:     by_value
      - .offset:         38
        .size:           1
        .value_kind:     by_value
      - .offset:         40
        .size:           4
        .value_kind:     hidden_block_count_x
      - .offset:         44
        .size:           4
        .value_kind:     hidden_block_count_y
      - .offset:         48
        .size:           4
        .value_kind:     hidden_block_count_z
      - .offset:         52
        .size:           2
        .value_kind:     hidden_group_size_x
      - .offset:         54
        .size:           2
        .value_kind:     hidden_group_size_y
      - .offset:         56
        .size:           2
        .value_kind:     hidden_group_size_z
      - .offset:         58
        .size:           2
        .value_kind:     hidden_remainder_x
      - .offset:         60
        .size:           2
        .value_kind:     hidden_remainder_y
      - .offset:         62
        .size:           2
        .value_kind:     hidden_remainder_z
      - .offset:         80
        .size:           8
        .value_kind:     hidden_global_offset_x
      - .offset:         88
        .size:           8
        .value_kind:     hidden_global_offset_y
      - .offset:         96
        .size:           8
        .value_kind:     hidden_global_offset_z
      - .offset:         104
        .size:           2
        .value_kind:     hidden_grid_dims
    .group_segment_fixed_size: 0
    .kernarg_segment_align: 8
    .kernarg_segment_size: 296
    .language:       OpenCL C
    .language_version:
      - 2
      - 0
    .max_flat_workgroup_size: 256
    .name:           _ZN2ck17naive_gemm_kernelINS_13tensor_layout4gemm8RowMajorENS2_11ColumnMajorES3_ffffNS_16tensor_operation12element_wise11PassThroughES7_S7_ffEEvPKT2_PKT3_PT4_iiiT6_T7_T8_
    .private_segment_fixed_size: 0
    .sgpr_count:     18
    .sgpr_spill_count: 0
    .symbol:         _ZN2ck17naive_gemm_kernelINS_13tensor_layout4gemm8RowMajorENS2_11ColumnMajorES3_ffffNS_16tensor_operation12element_wise11PassThroughES7_S7_ffEEvPKT2_PKT3_PT4_iiiT6_T7_T8_.kd
    .uniform_work_group_size: 1
    .uses_dynamic_stack: false
    .vgpr_count:     9
    .vgpr_spill_count: 0
    .wavefront_size: 64
amdhsa.target:   amdgcn-amd-amdhsa--gfx950
amdhsa.version:
  - 1
  - 2
...

	.end_amdgpu_metadata
